;; amdgpu-corpus repo=triton-lang/triton kind=triton arch=gfx1201 opt=O3 lang=triton
	.amdgcn_target "amdgcn-amd-amdhsa--gfx1201"
	.amdhsa_code_object_version 5
	.text
	.globl	attention_fwd_kernel            ; -- Begin function attention_fwd_kernel
	.p2align	8
	.type	attention_fwd_kernel,@function
attention_fwd_kernel:                   ; @attention_fwd_kernel
.Lfunc_begin0:
	.file	1 "/root/src/amdgpu-assembly/repos/triton-lang__triton-aot" "attention_fwd.py"
	.loc	1 8 0                           ; attention_fwd.py:8:0
	.cfi_sections .debug_frame
	.cfi_startproc
; %bb.0:
	s_load_b64 s[4:5], s[0:1], 0x24
.Ltmp0:
	.loc	1 45 20 prologue_end            ; attention_fwd.py:45:20
	s_bfe_u32 s39, ttmp8, 0x50019
	s_clause 0x1
	s_load_b32 s34, s[0:1], 0x44
	s_load_b64 s[2:3], s[0:1], 0x0
	.loc	1 17 46                         ; attention_fwd.py:17:46
	s_lshl_b32 s38, s39, 5
	.loc	1 17 23 is_stmt 0               ; attention_fwd.py:17:23
	s_lshl_b32 s35, ttmp9, 7
	.loc	1 17 46                         ; attention_fwd.py:17:46
	v_and_or_b32 v4, v0, 31, s38
	s_bfe_u32 s40, s39, 0x10002
	v_mov_b32_e32 v8, 0
	s_mov_b64 s[46:47], s[0:1]
	s_delay_alu instid0(VALU_DEP_2) | instskip(SKIP_1) | instid1(VALU_DEP_1)
	v_dual_mov_b32 v6, 0 :: v_dual_and_b32 v3, 0x7f, v4
	.loc	1 20 65 is_stmt 1               ; attention_fwd.py:20:65
	s_wait_kmcnt 0x0
	v_mul_lo_u32 v1, s5, v3
	.loc	1 17 33                         ; attention_fwd.py:17:33
	s_or_b32 s5, s40, s35
	.loc	1 21 47                         ; attention_fwd.py:21:47
	s_wait_alu depctr_sa_sdst(0)
	s_cmp_ge_i32 s5, s34
	s_delay_alu instid0(VALU_DEP_1)
	.loc	1 20 47                         ; attention_fwd.py:20:47
	v_ashrrev_i32_e32 v2, 31, v1
	.loc	1 21 16                         ; attention_fwd.py:21:16
	s_cbranch_scc1 .LBB0_2
; %bb.1:
	.loc	1 0 16 is_stmt 0                ; attention_fwd.py:0:16
	s_mul_i32 s0, s4, s5
	s_delay_alu instid0(VALU_DEP_1) | instskip(SKIP_1) | instid1(SALU_CYCLE_1)
	v_lshlrev_b64_e32 v[7:8], 1, v[1:2]
	s_ashr_i32 s1, s0, 31
	s_lshl_b64 s[0:1], s[0:1], 1
	s_delay_alu instid0(SALU_CYCLE_1)
	s_add_nc_u64 s[0:1], s[2:3], s[0:1]
	s_delay_alu instid0(VALU_DEP_1) | instid1(SALU_CYCLE_1)
	v_add_co_u32 v7, vcc_lo, s0, v7
	s_delay_alu instid0(VALU_DEP_1)
	v_add_co_ci_u32_e64 v8, null, s1, v8, vcc_lo
	.loc	1 21 16                         ; attention_fwd.py:21:16
	global_load_u16 v8, v[7:8], off
.LBB0_2:
	.loc	1 17 46 is_stmt 1               ; attention_fwd.py:17:46
	s_or_b32 s0, s40, 2
	.loc	1 17 33 is_stmt 0               ; attention_fwd.py:17:33
	s_wait_alu depctr_sa_sdst(0)
	s_or_b32 s1, s0, s35
	.loc	1 21 47 is_stmt 1               ; attention_fwd.py:21:47
	s_wait_alu depctr_sa_sdst(0)
	s_cmp_ge_i32 s1, s34
	.loc	1 21 16 is_stmt 0               ; attention_fwd.py:21:16
	s_cbranch_scc1 .LBB0_4
; %bb.3:
	.loc	1 20 35 is_stmt 1               ; attention_fwd.py:20:35
	s_mul_i32 s6, s4, s1
	.loc	1 20 47 is_stmt 0               ; attention_fwd.py:20:47
	v_lshlrev_b64_e32 v[5:6], 1, v[1:2]
	.loc	1 20 17                         ; attention_fwd.py:20:17
	s_ashr_i32 s7, s6, 31
	s_delay_alu instid0(SALU_CYCLE_1) | instskip(NEXT) | instid1(SALU_CYCLE_1)
	s_lshl_b64 s[6:7], s[6:7], 1
	s_add_nc_u64 s[6:7], s[2:3], s[6:7]
	s_delay_alu instid0(VALU_DEP_1) | instid1(SALU_CYCLE_1)
	.loc	1 20 47                         ; attention_fwd.py:20:47
	v_add_co_u32 v5, vcc_lo, s6, v5
	s_wait_alu depctr_va_vcc(0)
	v_add_co_ci_u32_e64 v6, null, s7, v6, vcc_lo
	.loc	1 21 16 is_stmt 1               ; attention_fwd.py:21:16
	global_load_u16 v6, v[5:6], off
.LBB0_4:
	.loc	1 17 46                         ; attention_fwd.py:17:46
	s_or_b32 s1, s40, 4
	v_dual_mov_b32 v7, 0 :: v_dual_mov_b32 v10, 0
	.loc	1 17 33 is_stmt 0               ; attention_fwd.py:17:33
	s_wait_alu depctr_sa_sdst(0)
	s_or_b32 s6, s1, s35
	.loc	1 21 47 is_stmt 1               ; attention_fwd.py:21:47
	s_wait_alu depctr_sa_sdst(0)
	s_cmp_ge_i32 s6, s34
	.loc	1 21 16 is_stmt 0               ; attention_fwd.py:21:16
	s_cbranch_scc1 .LBB0_6
; %bb.5:
	.loc	1 20 35 is_stmt 1               ; attention_fwd.py:20:35
	s_mul_i32 s6, s4, s6
	.loc	1 20 47 is_stmt 0               ; attention_fwd.py:20:47
	v_lshlrev_b64_e32 v[9:10], 1, v[1:2]
	.loc	1 20 17                         ; attention_fwd.py:20:17
	s_wait_alu depctr_sa_sdst(0)
	s_ashr_i32 s7, s6, 31
	s_wait_alu depctr_sa_sdst(0)
	s_lshl_b64 s[6:7], s[6:7], 1
	s_wait_alu depctr_sa_sdst(0)
	s_add_nc_u64 s[6:7], s[2:3], s[6:7]
	.loc	1 20 47                         ; attention_fwd.py:20:47
	s_wait_alu depctr_sa_sdst(0)
	v_add_co_u32 v9, vcc_lo, s6, v9
	s_wait_alu depctr_va_vcc(0)
	v_add_co_ci_u32_e64 v10, null, s7, v10, vcc_lo
	.loc	1 21 16 is_stmt 1               ; attention_fwd.py:21:16
	global_load_u16 v10, v[9:10], off
.LBB0_6:
	.loc	1 17 46                         ; attention_fwd.py:17:46
	s_or_b32 s6, s40, 6
	.loc	1 17 33 is_stmt 0               ; attention_fwd.py:17:33
	s_wait_alu depctr_sa_sdst(0)
	s_or_b32 s7, s6, s35
	.loc	1 21 47 is_stmt 1               ; attention_fwd.py:21:47
	s_wait_alu depctr_sa_sdst(0)
	s_cmp_ge_i32 s7, s34
	.loc	1 21 16 is_stmt 0               ; attention_fwd.py:21:16
	s_cbranch_scc1 .LBB0_8
; %bb.7:
	.loc	1 20 35 is_stmt 1               ; attention_fwd.py:20:35
	s_mul_i32 s8, s4, s7
	.loc	1 20 47 is_stmt 0               ; attention_fwd.py:20:47
	v_lshlrev_b64_e32 v[11:12], 1, v[1:2]
	.loc	1 20 17                         ; attention_fwd.py:20:17
	s_ashr_i32 s9, s8, 31
	s_delay_alu instid0(SALU_CYCLE_1) | instskip(NEXT) | instid1(SALU_CYCLE_1)
	s_lshl_b64 s[8:9], s[8:9], 1
	s_add_nc_u64 s[8:9], s[2:3], s[8:9]
	s_delay_alu instid0(VALU_DEP_1) | instid1(SALU_CYCLE_1)
	.loc	1 20 47                         ; attention_fwd.py:20:47
	v_add_co_u32 v11, vcc_lo, s8, v11
	s_wait_alu depctr_va_vcc(0)
	v_add_co_ci_u32_e64 v12, null, s9, v12, vcc_lo
	.loc	1 21 16 is_stmt 1               ; attention_fwd.py:21:16
	global_load_u16 v7, v[11:12], off
.LBB0_8:
	.loc	1 17 46                         ; attention_fwd.py:17:46
	s_or_b32 s7, s40, 8
	v_dual_mov_b32 v9, 0 :: v_dual_mov_b32 v12, 0
	.loc	1 17 33 is_stmt 0               ; attention_fwd.py:17:33
	s_wait_alu depctr_sa_sdst(0)
	s_or_b32 s8, s7, s35
	.loc	1 21 47 is_stmt 1               ; attention_fwd.py:21:47
	s_wait_alu depctr_sa_sdst(0)
	s_cmp_ge_i32 s8, s34
	.loc	1 21 16 is_stmt 0               ; attention_fwd.py:21:16
	s_cbranch_scc1 .LBB0_10
; %bb.9:
	.loc	1 20 35 is_stmt 1               ; attention_fwd.py:20:35
	s_mul_i32 s8, s4, s8
	.loc	1 20 47 is_stmt 0               ; attention_fwd.py:20:47
	v_lshlrev_b64_e32 v[11:12], 1, v[1:2]
	.loc	1 20 17                         ; attention_fwd.py:20:17
	s_wait_alu depctr_sa_sdst(0)
	s_ashr_i32 s9, s8, 31
	s_wait_alu depctr_sa_sdst(0)
	s_lshl_b64 s[8:9], s[8:9], 1
	s_wait_alu depctr_sa_sdst(0)
	s_add_nc_u64 s[8:9], s[2:3], s[8:9]
	.loc	1 20 47                         ; attention_fwd.py:20:47
	s_wait_alu depctr_sa_sdst(0)
	v_add_co_u32 v11, vcc_lo, s8, v11
	s_wait_alu depctr_va_vcc(0)
	v_add_co_ci_u32_e64 v12, null, s9, v12, vcc_lo
	.loc	1 21 16 is_stmt 1               ; attention_fwd.py:21:16
	global_load_u16 v12, v[11:12], off
.LBB0_10:
	.loc	1 17 46                         ; attention_fwd.py:17:46
	s_or_b32 s8, s40, 10
	.loc	1 17 33 is_stmt 0               ; attention_fwd.py:17:33
	s_wait_alu depctr_sa_sdst(0)
	s_or_b32 s9, s8, s35
	.loc	1 21 47 is_stmt 1               ; attention_fwd.py:21:47
	s_wait_alu depctr_sa_sdst(0)
	s_cmp_ge_i32 s9, s34
	.loc	1 21 16 is_stmt 0               ; attention_fwd.py:21:16
	s_cbranch_scc1 .LBB0_12
; %bb.11:
	.loc	1 20 35 is_stmt 1               ; attention_fwd.py:20:35
	s_mul_i32 s10, s4, s9
	.loc	1 20 47 is_stmt 0               ; attention_fwd.py:20:47
	v_lshlrev_b64_e32 v[13:14], 1, v[1:2]
	.loc	1 20 17                         ; attention_fwd.py:20:17
	s_ashr_i32 s11, s10, 31
	s_delay_alu instid0(SALU_CYCLE_1) | instskip(NEXT) | instid1(SALU_CYCLE_1)
	s_lshl_b64 s[10:11], s[10:11], 1
	s_add_nc_u64 s[10:11], s[2:3], s[10:11]
	s_delay_alu instid0(VALU_DEP_1) | instid1(SALU_CYCLE_1)
	.loc	1 20 47                         ; attention_fwd.py:20:47
	v_add_co_u32 v13, vcc_lo, s10, v13
	s_wait_alu depctr_va_vcc(0)
	v_add_co_ci_u32_e64 v14, null, s11, v14, vcc_lo
	.loc	1 21 16 is_stmt 1               ; attention_fwd.py:21:16
	global_load_u16 v9, v[13:14], off
.LBB0_12:
	.loc	1 17 46                         ; attention_fwd.py:17:46
	s_or_b32 s9, s40, 12
	v_mov_b32_e32 v11, 0
	v_mov_b32_e32 v13, 0
	.loc	1 17 33 is_stmt 0               ; attention_fwd.py:17:33
	s_wait_alu depctr_sa_sdst(0)
	s_or_b32 s10, s9, s35
	.loc	1 21 47 is_stmt 1               ; attention_fwd.py:21:47
	s_wait_alu depctr_sa_sdst(0)
	s_cmp_ge_i32 s10, s34
	.loc	1 21 16 is_stmt 0               ; attention_fwd.py:21:16
	s_cbranch_scc1 .LBB0_14
; %bb.13:
	.loc	1 20 35 is_stmt 1               ; attention_fwd.py:20:35
	s_mul_i32 s10, s4, s10
	.loc	1 20 47 is_stmt 0               ; attention_fwd.py:20:47
	v_lshlrev_b64_e32 v[13:14], 1, v[1:2]
	.loc	1 20 17                         ; attention_fwd.py:20:17
	s_wait_alu depctr_sa_sdst(0)
	s_ashr_i32 s11, s10, 31
	s_wait_alu depctr_sa_sdst(0)
	s_lshl_b64 s[10:11], s[10:11], 1
	s_wait_alu depctr_sa_sdst(0)
	s_add_nc_u64 s[10:11], s[2:3], s[10:11]
	.loc	1 20 47                         ; attention_fwd.py:20:47
	s_wait_alu depctr_sa_sdst(0)
	v_add_co_u32 v13, vcc_lo, s10, v13
	s_wait_alu depctr_va_vcc(0)
	v_add_co_ci_u32_e64 v14, null, s11, v14, vcc_lo
	.loc	1 21 16 is_stmt 1               ; attention_fwd.py:21:16
	global_load_u16 v13, v[13:14], off
.LBB0_14:
	.loc	1 17 46                         ; attention_fwd.py:17:46
	s_or_b32 s10, s40, 14
	.loc	1 17 33 is_stmt 0               ; attention_fwd.py:17:33
	s_wait_alu depctr_sa_sdst(0)
	s_or_b32 s11, s10, s35
	.loc	1 21 47 is_stmt 1               ; attention_fwd.py:21:47
	s_wait_alu depctr_sa_sdst(0)
	s_cmp_ge_i32 s11, s34
	.loc	1 21 16 is_stmt 0               ; attention_fwd.py:21:16
	s_cbranch_scc1 .LBB0_16
; %bb.15:
	.loc	1 20 35 is_stmt 1               ; attention_fwd.py:20:35
	s_mul_i32 s12, s4, s11
	.loc	1 20 47 is_stmt 0               ; attention_fwd.py:20:47
	v_lshlrev_b64_e32 v[14:15], 1, v[1:2]
	.loc	1 20 17                         ; attention_fwd.py:20:17
	s_ashr_i32 s13, s12, 31
	s_delay_alu instid0(SALU_CYCLE_1) | instskip(NEXT) | instid1(SALU_CYCLE_1)
	s_lshl_b64 s[12:13], s[12:13], 1
	s_add_nc_u64 s[12:13], s[2:3], s[12:13]
	s_delay_alu instid0(VALU_DEP_1) | instid1(SALU_CYCLE_1)
	.loc	1 20 47                         ; attention_fwd.py:20:47
	v_add_co_u32 v14, vcc_lo, s12, v14
	s_wait_alu depctr_va_vcc(0)
	v_add_co_ci_u32_e64 v15, null, s13, v15, vcc_lo
	.loc	1 21 16 is_stmt 1               ; attention_fwd.py:21:16
	global_load_u16 v11, v[14:15], off
.LBB0_16:
	.loc	1 17 46                         ; attention_fwd.py:17:46
	s_or_b32 s11, s40, 16
	v_mov_b32_e32 v14, 0
	v_mov_b32_e32 v16, 0
	.loc	1 17 33 is_stmt 0               ; attention_fwd.py:17:33
	s_wait_alu depctr_sa_sdst(0)
	s_or_b32 s12, s11, s35
	.loc	1 21 47 is_stmt 1               ; attention_fwd.py:21:47
	s_wait_alu depctr_sa_sdst(0)
	s_cmp_ge_i32 s12, s34
	.loc	1 21 16 is_stmt 0               ; attention_fwd.py:21:16
	s_cbranch_scc1 .LBB0_18
; %bb.17:
	.loc	1 20 35 is_stmt 1               ; attention_fwd.py:20:35
	s_mul_i32 s12, s4, s12
	.loc	1 20 47 is_stmt 0               ; attention_fwd.py:20:47
	v_lshlrev_b64_e32 v[15:16], 1, v[1:2]
	.loc	1 20 17                         ; attention_fwd.py:20:17
	s_wait_alu depctr_sa_sdst(0)
	s_ashr_i32 s13, s12, 31
	s_wait_alu depctr_sa_sdst(0)
	s_lshl_b64 s[12:13], s[12:13], 1
	s_wait_alu depctr_sa_sdst(0)
	s_add_nc_u64 s[12:13], s[2:3], s[12:13]
	.loc	1 20 47                         ; attention_fwd.py:20:47
	s_wait_alu depctr_sa_sdst(0)
	v_add_co_u32 v15, vcc_lo, s12, v15
	s_wait_alu depctr_va_vcc(0)
	v_add_co_ci_u32_e64 v16, null, s13, v16, vcc_lo
	.loc	1 21 16 is_stmt 1               ; attention_fwd.py:21:16
	global_load_u16 v16, v[15:16], off
.LBB0_18:
	.loc	1 17 46                         ; attention_fwd.py:17:46
	s_or_b32 s12, s40, 18
	.loc	1 17 33 is_stmt 0               ; attention_fwd.py:17:33
	s_wait_alu depctr_sa_sdst(0)
	s_or_b32 s13, s12, s35
	.loc	1 21 47 is_stmt 1               ; attention_fwd.py:21:47
	s_wait_alu depctr_sa_sdst(0)
	s_cmp_ge_i32 s13, s34
	.loc	1 21 16 is_stmt 0               ; attention_fwd.py:21:16
	s_cbranch_scc1 .LBB0_20
; %bb.19:
	.loc	1 20 35 is_stmt 1               ; attention_fwd.py:20:35
	s_mul_i32 s14, s4, s13
	.loc	1 20 47 is_stmt 0               ; attention_fwd.py:20:47
	v_lshlrev_b64_e32 v[14:15], 1, v[1:2]
	.loc	1 20 17                         ; attention_fwd.py:20:17
	s_ashr_i32 s15, s14, 31
	s_delay_alu instid0(SALU_CYCLE_1) | instskip(NEXT) | instid1(SALU_CYCLE_1)
	s_lshl_b64 s[14:15], s[14:15], 1
	s_add_nc_u64 s[14:15], s[2:3], s[14:15]
	s_delay_alu instid0(VALU_DEP_1) | instid1(SALU_CYCLE_1)
	.loc	1 20 47                         ; attention_fwd.py:20:47
	v_add_co_u32 v14, vcc_lo, s14, v14
	s_wait_alu depctr_va_vcc(0)
	v_add_co_ci_u32_e64 v15, null, s15, v15, vcc_lo
	.loc	1 21 16 is_stmt 1               ; attention_fwd.py:21:16
	global_load_u16 v14, v[14:15], off
.LBB0_20:
	.loc	1 17 46                         ; attention_fwd.py:17:46
	s_or_b32 s13, s40, 20
	v_dual_mov_b32 v15, 0 :: v_dual_mov_b32 v18, 0
	.loc	1 17 33 is_stmt 0               ; attention_fwd.py:17:33
	s_wait_alu depctr_sa_sdst(0)
	s_or_b32 s14, s13, s35
	.loc	1 21 47 is_stmt 1               ; attention_fwd.py:21:47
	s_wait_alu depctr_sa_sdst(0)
	s_cmp_ge_i32 s14, s34
	.loc	1 21 16 is_stmt 0               ; attention_fwd.py:21:16
	s_cbranch_scc1 .LBB0_22
; %bb.21:
	.loc	1 20 35 is_stmt 1               ; attention_fwd.py:20:35
	s_mul_i32 s14, s4, s14
	.loc	1 20 47 is_stmt 0               ; attention_fwd.py:20:47
	v_lshlrev_b64_e32 v[17:18], 1, v[1:2]
	.loc	1 20 17                         ; attention_fwd.py:20:17
	s_wait_alu depctr_sa_sdst(0)
	s_ashr_i32 s15, s14, 31
	s_wait_alu depctr_sa_sdst(0)
	s_lshl_b64 s[14:15], s[14:15], 1
	s_wait_alu depctr_sa_sdst(0)
	s_add_nc_u64 s[14:15], s[2:3], s[14:15]
	.loc	1 20 47                         ; attention_fwd.py:20:47
	s_wait_alu depctr_sa_sdst(0)
	v_add_co_u32 v17, vcc_lo, s14, v17
	s_wait_alu depctr_va_vcc(0)
	v_add_co_ci_u32_e64 v18, null, s15, v18, vcc_lo
	.loc	1 21 16 is_stmt 1               ; attention_fwd.py:21:16
	global_load_u16 v18, v[17:18], off
.LBB0_22:
	.loc	1 17 46                         ; attention_fwd.py:17:46
	s_or_b32 s14, s40, 22
	.loc	1 17 33 is_stmt 0               ; attention_fwd.py:17:33
	s_wait_alu depctr_sa_sdst(0)
	s_or_b32 s15, s14, s35
	.loc	1 21 47 is_stmt 1               ; attention_fwd.py:21:47
	s_wait_alu depctr_sa_sdst(0)
	s_cmp_ge_i32 s15, s34
	.loc	1 21 16 is_stmt 0               ; attention_fwd.py:21:16
	s_cbranch_scc1 .LBB0_24
; %bb.23:
	.loc	1 20 35 is_stmt 1               ; attention_fwd.py:20:35
	s_mul_i32 s16, s4, s15
	.loc	1 20 47 is_stmt 0               ; attention_fwd.py:20:47
	v_lshlrev_b64_e32 v[19:20], 1, v[1:2]
	.loc	1 20 17                         ; attention_fwd.py:20:17
	s_ashr_i32 s17, s16, 31
	s_delay_alu instid0(SALU_CYCLE_1) | instskip(NEXT) | instid1(SALU_CYCLE_1)
	s_lshl_b64 s[16:17], s[16:17], 1
	s_add_nc_u64 s[16:17], s[2:3], s[16:17]
	s_delay_alu instid0(VALU_DEP_1) | instid1(SALU_CYCLE_1)
	.loc	1 20 47                         ; attention_fwd.py:20:47
	v_add_co_u32 v19, vcc_lo, s16, v19
	s_wait_alu depctr_va_vcc(0)
	v_add_co_ci_u32_e64 v20, null, s17, v20, vcc_lo
	.loc	1 21 16 is_stmt 1               ; attention_fwd.py:21:16
	global_load_u16 v15, v[19:20], off
.LBB0_24:
	.loc	1 17 46                         ; attention_fwd.py:17:46
	s_or_b32 s15, s40, 24
	v_dual_mov_b32 v17, 0 :: v_dual_mov_b32 v20, 0
	.loc	1 17 33 is_stmt 0               ; attention_fwd.py:17:33
	s_wait_alu depctr_sa_sdst(0)
	s_or_b32 s16, s15, s35
	.loc	1 21 47 is_stmt 1               ; attention_fwd.py:21:47
	s_wait_alu depctr_sa_sdst(0)
	s_cmp_ge_i32 s16, s34
	.loc	1 21 16 is_stmt 0               ; attention_fwd.py:21:16
	s_cbranch_scc1 .LBB0_26
; %bb.25:
	.loc	1 20 35 is_stmt 1               ; attention_fwd.py:20:35
	s_mul_i32 s16, s4, s16
	.loc	1 20 47 is_stmt 0               ; attention_fwd.py:20:47
	v_lshlrev_b64_e32 v[19:20], 1, v[1:2]
	.loc	1 20 17                         ; attention_fwd.py:20:17
	s_wait_alu depctr_sa_sdst(0)
	s_ashr_i32 s17, s16, 31
	s_wait_alu depctr_sa_sdst(0)
	s_lshl_b64 s[16:17], s[16:17], 1
	s_wait_alu depctr_sa_sdst(0)
	s_add_nc_u64 s[16:17], s[2:3], s[16:17]
	.loc	1 20 47                         ; attention_fwd.py:20:47
	s_wait_alu depctr_sa_sdst(0)
	v_add_co_u32 v19, vcc_lo, s16, v19
	s_wait_alu depctr_va_vcc(0)
	v_add_co_ci_u32_e64 v20, null, s17, v20, vcc_lo
	.loc	1 21 16 is_stmt 1               ; attention_fwd.py:21:16
	global_load_u16 v20, v[19:20], off
.LBB0_26:
	.loc	1 17 46                         ; attention_fwd.py:17:46
	s_or_b32 s16, s40, 26
	.loc	1 17 33 is_stmt 0               ; attention_fwd.py:17:33
	s_wait_alu depctr_sa_sdst(0)
	s_or_b32 s17, s16, s35
	.loc	1 21 47 is_stmt 1               ; attention_fwd.py:21:47
	s_wait_alu depctr_sa_sdst(0)
	s_cmp_ge_i32 s17, s34
	.loc	1 21 16 is_stmt 0               ; attention_fwd.py:21:16
	s_cbranch_scc1 .LBB0_28
; %bb.27:
	.loc	1 20 35 is_stmt 1               ; attention_fwd.py:20:35
	s_mul_i32 s18, s4, s17
	.loc	1 20 47 is_stmt 0               ; attention_fwd.py:20:47
	v_lshlrev_b64_e32 v[21:22], 1, v[1:2]
	.loc	1 20 17                         ; attention_fwd.py:20:17
	s_ashr_i32 s19, s18, 31
	s_delay_alu instid0(SALU_CYCLE_1) | instskip(NEXT) | instid1(SALU_CYCLE_1)
	s_lshl_b64 s[18:19], s[18:19], 1
	s_add_nc_u64 s[18:19], s[2:3], s[18:19]
	s_delay_alu instid0(VALU_DEP_1) | instid1(SALU_CYCLE_1)
	.loc	1 20 47                         ; attention_fwd.py:20:47
	v_add_co_u32 v21, vcc_lo, s18, v21
	s_wait_alu depctr_va_vcc(0)
	v_add_co_ci_u32_e64 v22, null, s19, v22, vcc_lo
	.loc	1 21 16 is_stmt 1               ; attention_fwd.py:21:16
	global_load_u16 v17, v[21:22], off
.LBB0_28:
	.loc	1 17 46                         ; attention_fwd.py:17:46
	s_or_b32 s17, s40, 28
	v_mov_b32_e32 v19, 0
	v_mov_b32_e32 v21, 0
	.loc	1 17 33 is_stmt 0               ; attention_fwd.py:17:33
	s_wait_alu depctr_sa_sdst(0)
	s_or_b32 s18, s17, s35
	.loc	1 21 47 is_stmt 1               ; attention_fwd.py:21:47
	s_wait_alu depctr_sa_sdst(0)
	s_cmp_ge_i32 s18, s34
	.loc	1 21 16 is_stmt 0               ; attention_fwd.py:21:16
	s_cbranch_scc1 .LBB0_30
; %bb.29:
	.loc	1 20 35 is_stmt 1               ; attention_fwd.py:20:35
	s_mul_i32 s18, s4, s18
	.loc	1 20 47 is_stmt 0               ; attention_fwd.py:20:47
	v_lshlrev_b64_e32 v[21:22], 1, v[1:2]
	.loc	1 20 17                         ; attention_fwd.py:20:17
	s_wait_alu depctr_sa_sdst(0)
	s_ashr_i32 s19, s18, 31
	s_wait_alu depctr_sa_sdst(0)
	s_lshl_b64 s[18:19], s[18:19], 1
	s_wait_alu depctr_sa_sdst(0)
	s_add_nc_u64 s[18:19], s[2:3], s[18:19]
	.loc	1 20 47                         ; attention_fwd.py:20:47
	s_wait_alu depctr_sa_sdst(0)
	v_add_co_u32 v21, vcc_lo, s18, v21
	s_wait_alu depctr_va_vcc(0)
	v_add_co_ci_u32_e64 v22, null, s19, v22, vcc_lo
	.loc	1 21 16 is_stmt 1               ; attention_fwd.py:21:16
	global_load_u16 v21, v[21:22], off
.LBB0_30:
	.loc	1 17 46                         ; attention_fwd.py:17:46
	s_or_b32 s18, s40, 30
	.loc	1 17 33 is_stmt 0               ; attention_fwd.py:17:33
	s_wait_alu depctr_sa_sdst(0)
	s_or_b32 s19, s18, s35
	.loc	1 21 47 is_stmt 1               ; attention_fwd.py:21:47
	s_wait_alu depctr_sa_sdst(0)
	s_cmp_ge_i32 s19, s34
	.loc	1 21 16 is_stmt 0               ; attention_fwd.py:21:16
	s_cbranch_scc1 .LBB0_32
; %bb.31:
	.loc	1 20 35 is_stmt 1               ; attention_fwd.py:20:35
	s_mul_i32 s20, s4, s19
	.loc	1 20 47 is_stmt 0               ; attention_fwd.py:20:47
	v_lshlrev_b64_e32 v[22:23], 1, v[1:2]
	.loc	1 20 17                         ; attention_fwd.py:20:17
	s_ashr_i32 s21, s20, 31
	s_delay_alu instid0(SALU_CYCLE_1) | instskip(NEXT) | instid1(SALU_CYCLE_1)
	s_lshl_b64 s[20:21], s[20:21], 1
	s_add_nc_u64 s[20:21], s[2:3], s[20:21]
	s_delay_alu instid0(VALU_DEP_1) | instid1(SALU_CYCLE_1)
	.loc	1 20 47                         ; attention_fwd.py:20:47
	v_add_co_u32 v22, vcc_lo, s20, v22
	s_wait_alu depctr_va_vcc(0)
	v_add_co_ci_u32_e64 v23, null, s21, v23, vcc_lo
	.loc	1 21 16 is_stmt 1               ; attention_fwd.py:21:16
	global_load_u16 v19, v[22:23], off
.LBB0_32:
	.loc	1 17 46                         ; attention_fwd.py:17:46
	s_or_b32 s19, s40, 32
	v_mov_b32_e32 v22, 0
	v_mov_b32_e32 v24, 0
	.loc	1 17 33 is_stmt 0               ; attention_fwd.py:17:33
	s_wait_alu depctr_sa_sdst(0)
	s_or_b32 s20, s19, s35
	.loc	1 21 47 is_stmt 1               ; attention_fwd.py:21:47
	s_wait_alu depctr_sa_sdst(0)
	s_cmp_ge_i32 s20, s34
	.loc	1 21 16 is_stmt 0               ; attention_fwd.py:21:16
	s_cbranch_scc1 .LBB0_34
; %bb.33:
	.loc	1 20 35 is_stmt 1               ; attention_fwd.py:20:35
	s_mul_i32 s20, s4, s20
	.loc	1 20 47 is_stmt 0               ; attention_fwd.py:20:47
	v_lshlrev_b64_e32 v[23:24], 1, v[1:2]
	.loc	1 20 17                         ; attention_fwd.py:20:17
	s_wait_alu depctr_sa_sdst(0)
	s_ashr_i32 s21, s20, 31
	s_wait_alu depctr_sa_sdst(0)
	s_lshl_b64 s[20:21], s[20:21], 1
	s_wait_alu depctr_sa_sdst(0)
	s_add_nc_u64 s[20:21], s[2:3], s[20:21]
	.loc	1 20 47                         ; attention_fwd.py:20:47
	s_wait_alu depctr_sa_sdst(0)
	v_add_co_u32 v23, vcc_lo, s20, v23
	s_wait_alu depctr_va_vcc(0)
	v_add_co_ci_u32_e64 v24, null, s21, v24, vcc_lo
	.loc	1 21 16 is_stmt 1               ; attention_fwd.py:21:16
	global_load_u16 v24, v[23:24], off
.LBB0_34:
	.loc	1 17 46                         ; attention_fwd.py:17:46
	s_or_b32 s20, s40, 34
	.loc	1 17 33 is_stmt 0               ; attention_fwd.py:17:33
	s_wait_alu depctr_sa_sdst(0)
	s_or_b32 s21, s20, s35
	.loc	1 21 47 is_stmt 1               ; attention_fwd.py:21:47
	s_wait_alu depctr_sa_sdst(0)
	s_cmp_ge_i32 s21, s34
	.loc	1 21 16 is_stmt 0               ; attention_fwd.py:21:16
	s_cbranch_scc1 .LBB0_36
; %bb.35:
	.loc	1 20 35 is_stmt 1               ; attention_fwd.py:20:35
	s_mul_i32 s22, s4, s21
	.loc	1 20 47 is_stmt 0               ; attention_fwd.py:20:47
	v_lshlrev_b64_e32 v[22:23], 1, v[1:2]
	.loc	1 20 17                         ; attention_fwd.py:20:17
	s_ashr_i32 s23, s22, 31
	s_delay_alu instid0(SALU_CYCLE_1) | instskip(NEXT) | instid1(SALU_CYCLE_1)
	s_lshl_b64 s[22:23], s[22:23], 1
	s_add_nc_u64 s[22:23], s[2:3], s[22:23]
	s_delay_alu instid0(VALU_DEP_1) | instid1(SALU_CYCLE_1)
	.loc	1 20 47                         ; attention_fwd.py:20:47
	v_add_co_u32 v22, vcc_lo, s22, v22
	s_wait_alu depctr_va_vcc(0)
	v_add_co_ci_u32_e64 v23, null, s23, v23, vcc_lo
	.loc	1 21 16 is_stmt 1               ; attention_fwd.py:21:16
	global_load_u16 v22, v[22:23], off
.LBB0_36:
	.loc	1 17 46                         ; attention_fwd.py:17:46
	s_or_b32 s21, s40, 36
	v_dual_mov_b32 v23, 0 :: v_dual_mov_b32 v26, 0
	.loc	1 17 33 is_stmt 0               ; attention_fwd.py:17:33
	s_wait_alu depctr_sa_sdst(0)
	s_or_b32 s22, s21, s35
	.loc	1 21 47 is_stmt 1               ; attention_fwd.py:21:47
	s_wait_alu depctr_sa_sdst(0)
	s_cmp_ge_i32 s22, s34
	.loc	1 21 16 is_stmt 0               ; attention_fwd.py:21:16
	s_cbranch_scc1 .LBB0_38
; %bb.37:
	.loc	1 20 35 is_stmt 1               ; attention_fwd.py:20:35
	s_mul_i32 s22, s4, s22
	.loc	1 20 47 is_stmt 0               ; attention_fwd.py:20:47
	v_lshlrev_b64_e32 v[25:26], 1, v[1:2]
	.loc	1 20 17                         ; attention_fwd.py:20:17
	s_wait_alu depctr_sa_sdst(0)
	s_ashr_i32 s23, s22, 31
	s_wait_alu depctr_sa_sdst(0)
	s_lshl_b64 s[22:23], s[22:23], 1
	s_wait_alu depctr_sa_sdst(0)
	s_add_nc_u64 s[22:23], s[2:3], s[22:23]
	.loc	1 20 47                         ; attention_fwd.py:20:47
	s_wait_alu depctr_sa_sdst(0)
	v_add_co_u32 v25, vcc_lo, s22, v25
	s_wait_alu depctr_va_vcc(0)
	v_add_co_ci_u32_e64 v26, null, s23, v26, vcc_lo
	.loc	1 21 16 is_stmt 1               ; attention_fwd.py:21:16
	global_load_u16 v26, v[25:26], off
.LBB0_38:
	.loc	1 17 46                         ; attention_fwd.py:17:46
	s_or_b32 s22, s40, 38
	.loc	1 17 33 is_stmt 0               ; attention_fwd.py:17:33
	s_wait_alu depctr_sa_sdst(0)
	s_or_b32 s23, s22, s35
	.loc	1 21 47 is_stmt 1               ; attention_fwd.py:21:47
	s_wait_alu depctr_sa_sdst(0)
	s_cmp_ge_i32 s23, s34
	.loc	1 21 16 is_stmt 0               ; attention_fwd.py:21:16
	s_cbranch_scc1 .LBB0_40
; %bb.39:
	.loc	1 20 35 is_stmt 1               ; attention_fwd.py:20:35
	s_mul_i32 s24, s4, s23
	.loc	1 20 47 is_stmt 0               ; attention_fwd.py:20:47
	v_lshlrev_b64_e32 v[27:28], 1, v[1:2]
	.loc	1 20 17                         ; attention_fwd.py:20:17
	s_ashr_i32 s25, s24, 31
	s_delay_alu instid0(SALU_CYCLE_1) | instskip(NEXT) | instid1(SALU_CYCLE_1)
	s_lshl_b64 s[24:25], s[24:25], 1
	s_add_nc_u64 s[24:25], s[2:3], s[24:25]
	s_delay_alu instid0(VALU_DEP_1) | instid1(SALU_CYCLE_1)
	.loc	1 20 47                         ; attention_fwd.py:20:47
	v_add_co_u32 v27, vcc_lo, s24, v27
	s_wait_alu depctr_va_vcc(0)
	v_add_co_ci_u32_e64 v28, null, s25, v28, vcc_lo
	.loc	1 21 16 is_stmt 1               ; attention_fwd.py:21:16
	global_load_u16 v23, v[27:28], off
.LBB0_40:
	.loc	1 17 46                         ; attention_fwd.py:17:46
	s_or_b32 s23, s40, 40
	v_dual_mov_b32 v25, 0 :: v_dual_mov_b32 v28, 0
	.loc	1 17 33 is_stmt 0               ; attention_fwd.py:17:33
	s_wait_alu depctr_sa_sdst(0)
	s_or_b32 s24, s23, s35
	.loc	1 21 47 is_stmt 1               ; attention_fwd.py:21:47
	s_wait_alu depctr_sa_sdst(0)
	s_cmp_ge_i32 s24, s34
	.loc	1 21 16 is_stmt 0               ; attention_fwd.py:21:16
	s_cbranch_scc1 .LBB0_42
; %bb.41:
	.loc	1 20 35 is_stmt 1               ; attention_fwd.py:20:35
	s_mul_i32 s24, s4, s24
	.loc	1 20 47 is_stmt 0               ; attention_fwd.py:20:47
	v_lshlrev_b64_e32 v[27:28], 1, v[1:2]
	.loc	1 20 17                         ; attention_fwd.py:20:17
	s_wait_alu depctr_sa_sdst(0)
	s_ashr_i32 s25, s24, 31
	s_wait_alu depctr_sa_sdst(0)
	s_lshl_b64 s[24:25], s[24:25], 1
	s_wait_alu depctr_sa_sdst(0)
	s_add_nc_u64 s[24:25], s[2:3], s[24:25]
	.loc	1 20 47                         ; attention_fwd.py:20:47
	s_wait_alu depctr_sa_sdst(0)
	v_add_co_u32 v27, vcc_lo, s24, v27
	s_wait_alu depctr_va_vcc(0)
	v_add_co_ci_u32_e64 v28, null, s25, v28, vcc_lo
	.loc	1 21 16 is_stmt 1               ; attention_fwd.py:21:16
	global_load_u16 v28, v[27:28], off
.LBB0_42:
	.loc	1 17 46                         ; attention_fwd.py:17:46
	s_or_b32 s24, s40, 42
	.loc	1 17 33 is_stmt 0               ; attention_fwd.py:17:33
	s_wait_alu depctr_sa_sdst(0)
	s_or_b32 s25, s24, s35
	.loc	1 21 47 is_stmt 1               ; attention_fwd.py:21:47
	s_wait_alu depctr_sa_sdst(0)
	s_cmp_ge_i32 s25, s34
	.loc	1 21 16 is_stmt 0               ; attention_fwd.py:21:16
	s_cbranch_scc1 .LBB0_44
; %bb.43:
	.loc	1 20 35 is_stmt 1               ; attention_fwd.py:20:35
	s_mul_i32 s26, s4, s25
	.loc	1 20 47 is_stmt 0               ; attention_fwd.py:20:47
	v_lshlrev_b64_e32 v[29:30], 1, v[1:2]
	.loc	1 20 17                         ; attention_fwd.py:20:17
	s_ashr_i32 s27, s26, 31
	s_delay_alu instid0(SALU_CYCLE_1) | instskip(NEXT) | instid1(SALU_CYCLE_1)
	s_lshl_b64 s[26:27], s[26:27], 1
	s_add_nc_u64 s[26:27], s[2:3], s[26:27]
	s_delay_alu instid0(VALU_DEP_1) | instid1(SALU_CYCLE_1)
	.loc	1 20 47                         ; attention_fwd.py:20:47
	v_add_co_u32 v29, vcc_lo, s26, v29
	s_wait_alu depctr_va_vcc(0)
	v_add_co_ci_u32_e64 v30, null, s27, v30, vcc_lo
	.loc	1 21 16 is_stmt 1               ; attention_fwd.py:21:16
	global_load_u16 v25, v[29:30], off
.LBB0_44:
	.loc	1 17 46                         ; attention_fwd.py:17:46
	s_or_b32 s25, s40, 44
	v_mov_b32_e32 v27, 0
	v_mov_b32_e32 v29, 0
	.loc	1 17 33 is_stmt 0               ; attention_fwd.py:17:33
	s_wait_alu depctr_sa_sdst(0)
	s_or_b32 s26, s25, s35
	.loc	1 21 47 is_stmt 1               ; attention_fwd.py:21:47
	s_wait_alu depctr_sa_sdst(0)
	s_cmp_ge_i32 s26, s34
	.loc	1 21 16 is_stmt 0               ; attention_fwd.py:21:16
	s_cbranch_scc1 .LBB0_46
; %bb.45:
	.loc	1 20 35 is_stmt 1               ; attention_fwd.py:20:35
	s_mul_i32 s26, s4, s26
	.loc	1 20 47 is_stmt 0               ; attention_fwd.py:20:47
	v_lshlrev_b64_e32 v[29:30], 1, v[1:2]
	.loc	1 20 17                         ; attention_fwd.py:20:17
	s_wait_alu depctr_sa_sdst(0)
	s_ashr_i32 s27, s26, 31
	s_wait_alu depctr_sa_sdst(0)
	s_lshl_b64 s[26:27], s[26:27], 1
	s_wait_alu depctr_sa_sdst(0)
	s_add_nc_u64 s[26:27], s[2:3], s[26:27]
	.loc	1 20 47                         ; attention_fwd.py:20:47
	s_wait_alu depctr_sa_sdst(0)
	v_add_co_u32 v29, vcc_lo, s26, v29
	s_wait_alu depctr_va_vcc(0)
	v_add_co_ci_u32_e64 v30, null, s27, v30, vcc_lo
	.loc	1 21 16 is_stmt 1               ; attention_fwd.py:21:16
	global_load_u16 v29, v[29:30], off
.LBB0_46:
	.loc	1 17 46                         ; attention_fwd.py:17:46
	s_or_b32 s26, s40, 46
	.loc	1 17 33 is_stmt 0               ; attention_fwd.py:17:33
	s_wait_alu depctr_sa_sdst(0)
	s_or_b32 s27, s26, s35
	.loc	1 21 47 is_stmt 1               ; attention_fwd.py:21:47
	s_wait_alu depctr_sa_sdst(0)
	s_cmp_ge_i32 s27, s34
	.loc	1 21 16 is_stmt 0               ; attention_fwd.py:21:16
	s_cbranch_scc1 .LBB0_48
; %bb.47:
	.loc	1 20 35 is_stmt 1               ; attention_fwd.py:20:35
	s_mul_i32 s28, s4, s27
	.loc	1 20 47 is_stmt 0               ; attention_fwd.py:20:47
	v_lshlrev_b64_e32 v[30:31], 1, v[1:2]
	.loc	1 20 17                         ; attention_fwd.py:20:17
	s_ashr_i32 s29, s28, 31
	s_delay_alu instid0(SALU_CYCLE_1) | instskip(NEXT) | instid1(SALU_CYCLE_1)
	s_lshl_b64 s[28:29], s[28:29], 1
	s_add_nc_u64 s[28:29], s[2:3], s[28:29]
	s_delay_alu instid0(VALU_DEP_1) | instid1(SALU_CYCLE_1)
	.loc	1 20 47                         ; attention_fwd.py:20:47
	v_add_co_u32 v30, vcc_lo, s28, v30
	s_wait_alu depctr_va_vcc(0)
	v_add_co_ci_u32_e64 v31, null, s29, v31, vcc_lo
	.loc	1 21 16 is_stmt 1               ; attention_fwd.py:21:16
	global_load_u16 v27, v[30:31], off
.LBB0_48:
	.loc	1 17 46                         ; attention_fwd.py:17:46
	s_or_b32 s27, s40, 48
	v_mov_b32_e32 v30, 0
	v_mov_b32_e32 v32, 0
	.loc	1 17 33 is_stmt 0               ; attention_fwd.py:17:33
	s_wait_alu depctr_sa_sdst(0)
	s_or_b32 s28, s27, s35
	.loc	1 21 47 is_stmt 1               ; attention_fwd.py:21:47
	s_wait_alu depctr_sa_sdst(0)
	s_cmp_ge_i32 s28, s34
	.loc	1 21 16 is_stmt 0               ; attention_fwd.py:21:16
	s_cbranch_scc1 .LBB0_50
; %bb.49:
	.loc	1 20 35 is_stmt 1               ; attention_fwd.py:20:35
	s_mul_i32 s28, s4, s28
	.loc	1 20 47 is_stmt 0               ; attention_fwd.py:20:47
	v_lshlrev_b64_e32 v[31:32], 1, v[1:2]
	.loc	1 20 17                         ; attention_fwd.py:20:17
	s_wait_alu depctr_sa_sdst(0)
	s_ashr_i32 s29, s28, 31
	s_wait_alu depctr_sa_sdst(0)
	s_lshl_b64 s[28:29], s[28:29], 1
	s_wait_alu depctr_sa_sdst(0)
	s_add_nc_u64 s[28:29], s[2:3], s[28:29]
	.loc	1 20 47                         ; attention_fwd.py:20:47
	s_wait_alu depctr_sa_sdst(0)
	v_add_co_u32 v31, vcc_lo, s28, v31
	s_wait_alu depctr_va_vcc(0)
	v_add_co_ci_u32_e64 v32, null, s29, v32, vcc_lo
	.loc	1 21 16 is_stmt 1               ; attention_fwd.py:21:16
	global_load_u16 v32, v[31:32], off
.LBB0_50:
	.loc	1 17 46                         ; attention_fwd.py:17:46
	s_or_b32 s28, s40, 50
	.loc	1 17 33 is_stmt 0               ; attention_fwd.py:17:33
	s_wait_alu depctr_sa_sdst(0)
	s_or_b32 s29, s28, s35
	.loc	1 21 47 is_stmt 1               ; attention_fwd.py:21:47
	s_wait_alu depctr_sa_sdst(0)
	s_cmp_ge_i32 s29, s34
	.loc	1 21 16 is_stmt 0               ; attention_fwd.py:21:16
	s_cbranch_scc1 .LBB0_52
; %bb.51:
	.loc	1 20 35 is_stmt 1               ; attention_fwd.py:20:35
	s_mul_i32 s30, s4, s29
	.loc	1 20 47 is_stmt 0               ; attention_fwd.py:20:47
	v_lshlrev_b64_e32 v[30:31], 1, v[1:2]
	.loc	1 20 17                         ; attention_fwd.py:20:17
	s_ashr_i32 s31, s30, 31
	s_delay_alu instid0(SALU_CYCLE_1) | instskip(NEXT) | instid1(SALU_CYCLE_1)
	s_lshl_b64 s[30:31], s[30:31], 1
	s_add_nc_u64 s[30:31], s[2:3], s[30:31]
	s_delay_alu instid0(VALU_DEP_1) | instid1(SALU_CYCLE_1)
	.loc	1 20 47                         ; attention_fwd.py:20:47
	v_add_co_u32 v30, vcc_lo, s30, v30
	s_wait_alu depctr_va_vcc(0)
	v_add_co_ci_u32_e64 v31, null, s31, v31, vcc_lo
	.loc	1 21 16 is_stmt 1               ; attention_fwd.py:21:16
	global_load_u16 v30, v[30:31], off
.LBB0_52:
	.loc	1 17 46                         ; attention_fwd.py:17:46
	s_or_b32 s29, s40, 52
	v_dual_mov_b32 v31, 0 :: v_dual_mov_b32 v34, 0
	.loc	1 17 33 is_stmt 0               ; attention_fwd.py:17:33
	s_wait_alu depctr_sa_sdst(0)
	s_or_b32 s30, s29, s35
	.loc	1 21 47 is_stmt 1               ; attention_fwd.py:21:47
	s_wait_alu depctr_sa_sdst(0)
	s_cmp_ge_i32 s30, s34
	.loc	1 21 16 is_stmt 0               ; attention_fwd.py:21:16
	s_cbranch_scc1 .LBB0_54
; %bb.53:
	.loc	1 20 35 is_stmt 1               ; attention_fwd.py:20:35
	s_mul_i32 s30, s4, s30
	.loc	1 20 47 is_stmt 0               ; attention_fwd.py:20:47
	v_lshlrev_b64_e32 v[33:34], 1, v[1:2]
	.loc	1 20 17                         ; attention_fwd.py:20:17
	s_wait_alu depctr_sa_sdst(0)
	s_ashr_i32 s31, s30, 31
	s_wait_alu depctr_sa_sdst(0)
	s_lshl_b64 s[30:31], s[30:31], 1
	s_wait_alu depctr_sa_sdst(0)
	s_add_nc_u64 s[30:31], s[2:3], s[30:31]
	.loc	1 20 47                         ; attention_fwd.py:20:47
	s_wait_alu depctr_sa_sdst(0)
	v_add_co_u32 v33, vcc_lo, s30, v33
	s_wait_alu depctr_va_vcc(0)
	v_add_co_ci_u32_e64 v34, null, s31, v34, vcc_lo
	.loc	1 21 16 is_stmt 1               ; attention_fwd.py:21:16
	global_load_u16 v34, v[33:34], off
.LBB0_54:
	.loc	1 17 46                         ; attention_fwd.py:17:46
	s_or_b32 s30, s40, 54
	.loc	1 17 33 is_stmt 0               ; attention_fwd.py:17:33
	s_wait_alu depctr_sa_sdst(0)
	s_or_b32 s31, s30, s35
	.loc	1 21 47 is_stmt 1               ; attention_fwd.py:21:47
	s_wait_alu depctr_sa_sdst(0)
	s_cmp_ge_i32 s31, s34
	.loc	1 21 16 is_stmt 0               ; attention_fwd.py:21:16
	s_cbranch_scc1 .LBB0_56
; %bb.55:
	.loc	1 20 35 is_stmt 1               ; attention_fwd.py:20:35
	s_mul_i32 s36, s4, s31
	.loc	1 20 47 is_stmt 0               ; attention_fwd.py:20:47
	v_lshlrev_b64_e32 v[35:36], 1, v[1:2]
	.loc	1 20 17                         ; attention_fwd.py:20:17
	s_ashr_i32 s37, s36, 31
	s_delay_alu instid0(SALU_CYCLE_1) | instskip(NEXT) | instid1(SALU_CYCLE_1)
	s_lshl_b64 s[36:37], s[36:37], 1
	s_add_nc_u64 s[36:37], s[2:3], s[36:37]
	s_delay_alu instid0(VALU_DEP_1) | instid1(SALU_CYCLE_1)
	.loc	1 20 47                         ; attention_fwd.py:20:47
	v_add_co_u32 v35, vcc_lo, s36, v35
	s_wait_alu depctr_va_vcc(0)
	v_add_co_ci_u32_e64 v36, null, s37, v36, vcc_lo
	.loc	1 21 16 is_stmt 1               ; attention_fwd.py:21:16
	global_load_u16 v31, v[35:36], off
.LBB0_56:
	.loc	1 17 46                         ; attention_fwd.py:17:46
	s_or_b32 s31, s40, 56
	v_dual_mov_b32 v33, 0 :: v_dual_mov_b32 v36, 0
	.loc	1 17 33 is_stmt 0               ; attention_fwd.py:17:33
	s_wait_alu depctr_sa_sdst(0)
	s_or_b32 s33, s31, s35
	s_delay_alu instid0(SALU_CYCLE_1)
	.loc	1 21 47 is_stmt 1               ; attention_fwd.py:21:47
	s_cmp_ge_i32 s33, s34
	.loc	1 21 16 is_stmt 0               ; attention_fwd.py:21:16
	s_cbranch_scc1 .LBB0_58
; %bb.57:
	.loc	1 20 35 is_stmt 1               ; attention_fwd.py:20:35
	s_mul_i32 s36, s4, s33
	.loc	1 20 47 is_stmt 0               ; attention_fwd.py:20:47
	v_lshlrev_b64_e32 v[35:36], 1, v[1:2]
	.loc	1 20 17                         ; attention_fwd.py:20:17
	s_wait_alu depctr_sa_sdst(0)
	s_ashr_i32 s37, s36, 31
	s_wait_alu depctr_sa_sdst(0)
	s_lshl_b64 s[36:37], s[36:37], 1
	s_wait_alu depctr_sa_sdst(0)
	s_add_nc_u64 s[36:37], s[2:3], s[36:37]
	.loc	1 20 47                         ; attention_fwd.py:20:47
	s_wait_alu depctr_sa_sdst(0)
	v_add_co_u32 v35, vcc_lo, s36, v35
	s_wait_alu depctr_va_vcc(0)
	v_add_co_ci_u32_e64 v36, null, s37, v36, vcc_lo
	.loc	1 21 16 is_stmt 1               ; attention_fwd.py:21:16
	global_load_u16 v36, v[35:36], off
.LBB0_58:
	.loc	1 17 46                         ; attention_fwd.py:17:46
	s_or_b32 s33, s40, 58
	s_delay_alu instid0(SALU_CYCLE_1)
	.loc	1 17 33 is_stmt 0               ; attention_fwd.py:17:33
	s_or_b32 s36, s33, s35
	.loc	1 21 47 is_stmt 1               ; attention_fwd.py:21:47
	s_wait_alu depctr_sa_sdst(0)
	s_cmp_ge_i32 s36, s34
	.loc	1 21 16 is_stmt 0               ; attention_fwd.py:21:16
	s_cbranch_scc1 .LBB0_60
; %bb.59:
	.loc	1 20 35 is_stmt 1               ; attention_fwd.py:20:35
	s_mul_i32 s36, s4, s36
	.loc	1 20 47 is_stmt 0               ; attention_fwd.py:20:47
	v_lshlrev_b64_e32 v[37:38], 1, v[1:2]
	.loc	1 20 17                         ; attention_fwd.py:20:17
	s_wait_alu depctr_sa_sdst(0)
	s_ashr_i32 s37, s36, 31
	s_wait_alu depctr_sa_sdst(0)
	s_lshl_b64 s[36:37], s[36:37], 1
	s_wait_alu depctr_sa_sdst(0)
	s_add_nc_u64 s[36:37], s[2:3], s[36:37]
	.loc	1 20 47                         ; attention_fwd.py:20:47
	s_wait_alu depctr_sa_sdst(0)
	v_add_co_u32 v37, vcc_lo, s36, v37
	s_wait_alu depctr_va_vcc(0)
	v_add_co_ci_u32_e64 v38, null, s37, v38, vcc_lo
	.loc	1 21 16 is_stmt 1               ; attention_fwd.py:21:16
	global_load_u16 v33, v[37:38], off
.LBB0_60:
	.loc	1 17 46                         ; attention_fwd.py:17:46
	s_or_b32 s36, s40, 60
	v_mov_b32_e32 v35, 0
	v_mov_b32_e32 v37, 0
	.loc	1 17 33 is_stmt 0               ; attention_fwd.py:17:33
	s_wait_alu depctr_sa_sdst(0)
	s_or_b32 s37, s36, s35
	.loc	1 21 47 is_stmt 1               ; attention_fwd.py:21:47
	s_wait_alu depctr_sa_sdst(0)
	s_cmp_ge_i32 s37, s34
	.loc	1 21 16 is_stmt 0               ; attention_fwd.py:21:16
	s_cbranch_scc1 .LBB0_62
; %bb.61:
	.loc	1 20 35 is_stmt 1               ; attention_fwd.py:20:35
	s_mul_i32 s42, s4, s37
	.loc	1 20 47 is_stmt 0               ; attention_fwd.py:20:47
	v_lshlrev_b64_e32 v[37:38], 1, v[1:2]
	.loc	1 20 17                         ; attention_fwd.py:20:17
	s_ashr_i32 s43, s42, 31
	s_delay_alu instid0(SALU_CYCLE_1) | instskip(NEXT) | instid1(SALU_CYCLE_1)
	s_lshl_b64 s[42:43], s[42:43], 1
	s_add_nc_u64 s[42:43], s[2:3], s[42:43]
	s_delay_alu instid0(VALU_DEP_1) | instid1(SALU_CYCLE_1)
	.loc	1 20 47                         ; attention_fwd.py:20:47
	v_add_co_u32 v37, vcc_lo, s42, v37
	s_wait_alu depctr_va_vcc(0)
	v_add_co_ci_u32_e64 v38, null, s43, v38, vcc_lo
	.loc	1 21 16 is_stmt 1               ; attention_fwd.py:21:16
	global_load_u16 v37, v[37:38], off
.LBB0_62:
	.loc	1 17 46                         ; attention_fwd.py:17:46
	s_or_b32 s37, s40, 62
	.loc	1 17 33 is_stmt 0               ; attention_fwd.py:17:33
	s_wait_alu depctr_sa_sdst(0)
	s_or_b32 s41, s37, s35
	s_delay_alu instid0(SALU_CYCLE_1)
	.loc	1 21 47 is_stmt 1               ; attention_fwd.py:21:47
	s_cmp_ge_i32 s41, s34
	.loc	1 21 16 is_stmt 0               ; attention_fwd.py:21:16
	s_cbranch_scc1 .LBB0_64
; %bb.63:
	.loc	1 20 35 is_stmt 1               ; attention_fwd.py:20:35
	s_mul_i32 s42, s4, s41
	.loc	1 20 47 is_stmt 0               ; attention_fwd.py:20:47
	v_lshlrev_b64_e32 v[38:39], 1, v[1:2]
	.loc	1 20 17                         ; attention_fwd.py:20:17
	s_wait_alu depctr_sa_sdst(0)
	s_ashr_i32 s43, s42, 31
	s_wait_alu depctr_sa_sdst(0)
	s_lshl_b64 s[42:43], s[42:43], 1
	s_wait_alu depctr_sa_sdst(0)
	s_add_nc_u64 s[42:43], s[2:3], s[42:43]
	.loc	1 20 47                         ; attention_fwd.py:20:47
	s_wait_alu depctr_sa_sdst(0)
	v_add_co_u32 v38, vcc_lo, s42, v38
	s_wait_alu depctr_va_vcc(0)
	v_add_co_ci_u32_e64 v39, null, s43, v39, vcc_lo
	.loc	1 21 16 is_stmt 1               ; attention_fwd.py:21:16
	global_load_u16 v35, v[38:39], off
.LBB0_64:
	.loc	1 0 16 is_stmt 0                ; attention_fwd.py:0:16
	v_mov_b32_e32 v38, 0
	v_mov_b32_e32 v40, 0
	.loc	1 17 33 is_stmt 1               ; attention_fwd.py:17:33
	s_or_b32 s41, s5, 64
	s_delay_alu instid0(SALU_CYCLE_1)
	.loc	1 21 47                         ; attention_fwd.py:21:47
	s_cmp_ge_i32 s41, s34
	.loc	1 21 16 is_stmt 0               ; attention_fwd.py:21:16
	s_cbranch_scc1 .LBB0_66
; %bb.65:
	.loc	1 20 35 is_stmt 1               ; attention_fwd.py:20:35
	s_mul_i32 s42, s4, s41
	.loc	1 20 47 is_stmt 0               ; attention_fwd.py:20:47
	v_lshlrev_b64_e32 v[39:40], 1, v[1:2]
	.loc	1 20 17                         ; attention_fwd.py:20:17
	s_wait_alu depctr_sa_sdst(0)
	s_ashr_i32 s43, s42, 31
	s_wait_alu depctr_sa_sdst(0)
	s_lshl_b64 s[42:43], s[42:43], 1
	s_wait_alu depctr_sa_sdst(0)
	s_add_nc_u64 s[42:43], s[2:3], s[42:43]
	.loc	1 20 47                         ; attention_fwd.py:20:47
	s_wait_alu depctr_sa_sdst(0)
	v_add_co_u32 v39, vcc_lo, s42, v39
	s_wait_alu depctr_va_vcc(0)
	v_add_co_ci_u32_e64 v40, null, s43, v40, vcc_lo
	.loc	1 21 16 is_stmt 1               ; attention_fwd.py:21:16
	global_load_u16 v40, v[39:40], off
.LBB0_66:
	.loc	1 17 33                         ; attention_fwd.py:17:33
	s_or_b32 s41, s5, 0x42
	s_delay_alu instid0(SALU_CYCLE_1)
	.loc	1 21 47                         ; attention_fwd.py:21:47
	s_cmp_ge_i32 s41, s34
	.loc	1 21 16 is_stmt 0               ; attention_fwd.py:21:16
	s_cbranch_scc1 .LBB0_68
; %bb.67:
	.loc	1 20 35 is_stmt 1               ; attention_fwd.py:20:35
	s_mul_i32 s42, s4, s41
	.loc	1 20 47 is_stmt 0               ; attention_fwd.py:20:47
	v_lshlrev_b64_e32 v[38:39], 1, v[1:2]
	.loc	1 20 17                         ; attention_fwd.py:20:17
	s_wait_alu depctr_sa_sdst(0)
	s_ashr_i32 s43, s42, 31
	s_wait_alu depctr_sa_sdst(0)
	s_lshl_b64 s[42:43], s[42:43], 1
	s_wait_alu depctr_sa_sdst(0)
	s_add_nc_u64 s[42:43], s[2:3], s[42:43]
	.loc	1 20 47                         ; attention_fwd.py:20:47
	s_wait_alu depctr_sa_sdst(0)
	v_add_co_u32 v38, vcc_lo, s42, v38
	s_wait_alu depctr_va_vcc(0)
	v_add_co_ci_u32_e64 v39, null, s43, v39, vcc_lo
	.loc	1 21 16 is_stmt 1               ; attention_fwd.py:21:16
	global_load_u16 v38, v[38:39], off
.LBB0_68:
	.loc	1 0 16 is_stmt 0                ; attention_fwd.py:0:16
	v_dual_mov_b32 v39, 0 :: v_dual_mov_b32 v42, 0
	.loc	1 17 33 is_stmt 1               ; attention_fwd.py:17:33
	s_or_b32 s41, s5, 0x44
	s_delay_alu instid0(SALU_CYCLE_1)
	.loc	1 21 47                         ; attention_fwd.py:21:47
	s_cmp_ge_i32 s41, s34
	.loc	1 21 16 is_stmt 0               ; attention_fwd.py:21:16
	s_cbranch_scc1 .LBB0_70
; %bb.69:
	.loc	1 20 35 is_stmt 1               ; attention_fwd.py:20:35
	s_mul_i32 s42, s4, s41
	.loc	1 20 47 is_stmt 0               ; attention_fwd.py:20:47
	v_lshlrev_b64_e32 v[41:42], 1, v[1:2]
	.loc	1 20 17                         ; attention_fwd.py:20:17
	s_wait_alu depctr_sa_sdst(0)
	s_ashr_i32 s43, s42, 31
	s_wait_alu depctr_sa_sdst(0)
	s_lshl_b64 s[42:43], s[42:43], 1
	s_wait_alu depctr_sa_sdst(0)
	s_add_nc_u64 s[42:43], s[2:3], s[42:43]
	.loc	1 20 47                         ; attention_fwd.py:20:47
	s_wait_alu depctr_sa_sdst(0)
	v_add_co_u32 v41, vcc_lo, s42, v41
	s_wait_alu depctr_va_vcc(0)
	v_add_co_ci_u32_e64 v42, null, s43, v42, vcc_lo
	.loc	1 21 16 is_stmt 1               ; attention_fwd.py:21:16
	global_load_u16 v42, v[41:42], off
.LBB0_70:
	.loc	1 17 33                         ; attention_fwd.py:17:33
	s_or_b32 s41, s5, 0x46
	s_delay_alu instid0(SALU_CYCLE_1)
	.loc	1 21 47                         ; attention_fwd.py:21:47
	s_cmp_ge_i32 s41, s34
	.loc	1 21 16 is_stmt 0               ; attention_fwd.py:21:16
	s_cbranch_scc1 .LBB0_72
; %bb.71:
	.loc	1 20 35 is_stmt 1               ; attention_fwd.py:20:35
	s_mul_i32 s42, s4, s41
	.loc	1 20 47 is_stmt 0               ; attention_fwd.py:20:47
	v_lshlrev_b64_e32 v[43:44], 1, v[1:2]
	.loc	1 20 17                         ; attention_fwd.py:20:17
	s_wait_alu depctr_sa_sdst(0)
	s_ashr_i32 s43, s42, 31
	s_wait_alu depctr_sa_sdst(0)
	s_lshl_b64 s[42:43], s[42:43], 1
	s_wait_alu depctr_sa_sdst(0)
	s_add_nc_u64 s[42:43], s[2:3], s[42:43]
	.loc	1 20 47                         ; attention_fwd.py:20:47
	s_wait_alu depctr_sa_sdst(0)
	v_add_co_u32 v43, vcc_lo, s42, v43
	s_wait_alu depctr_va_vcc(0)
	v_add_co_ci_u32_e64 v44, null, s43, v44, vcc_lo
	.loc	1 21 16 is_stmt 1               ; attention_fwd.py:21:16
	global_load_u16 v39, v[43:44], off
.LBB0_72:
	.loc	1 0 16 is_stmt 0                ; attention_fwd.py:0:16
	v_dual_mov_b32 v41, 0 :: v_dual_mov_b32 v44, 0
	.loc	1 17 33 is_stmt 1               ; attention_fwd.py:17:33
	s_or_b32 s41, s5, 0x48
	s_delay_alu instid0(SALU_CYCLE_1)
	.loc	1 21 47                         ; attention_fwd.py:21:47
	s_cmp_ge_i32 s41, s34
	.loc	1 21 16 is_stmt 0               ; attention_fwd.py:21:16
	s_cbranch_scc1 .LBB0_74
; %bb.73:
	.loc	1 20 35 is_stmt 1               ; attention_fwd.py:20:35
	s_mul_i32 s42, s4, s41
	.loc	1 20 47 is_stmt 0               ; attention_fwd.py:20:47
	v_lshlrev_b64_e32 v[43:44], 1, v[1:2]
	.loc	1 20 17                         ; attention_fwd.py:20:17
	s_wait_alu depctr_sa_sdst(0)
	s_ashr_i32 s43, s42, 31
	s_wait_alu depctr_sa_sdst(0)
	s_lshl_b64 s[42:43], s[42:43], 1
	s_wait_alu depctr_sa_sdst(0)
	s_add_nc_u64 s[42:43], s[2:3], s[42:43]
	.loc	1 20 47                         ; attention_fwd.py:20:47
	s_wait_alu depctr_sa_sdst(0)
	v_add_co_u32 v43, vcc_lo, s42, v43
	s_wait_alu depctr_va_vcc(0)
	v_add_co_ci_u32_e64 v44, null, s43, v44, vcc_lo
	.loc	1 21 16 is_stmt 1               ; attention_fwd.py:21:16
	global_load_u16 v44, v[43:44], off
.LBB0_74:
	.loc	1 17 33                         ; attention_fwd.py:17:33
	s_or_b32 s41, s5, 0x4a
	s_delay_alu instid0(SALU_CYCLE_1)
	.loc	1 21 47                         ; attention_fwd.py:21:47
	s_cmp_ge_i32 s41, s34
	.loc	1 21 16 is_stmt 0               ; attention_fwd.py:21:16
	s_cbranch_scc1 .LBB0_76
; %bb.75:
	.loc	1 20 35 is_stmt 1               ; attention_fwd.py:20:35
	s_mul_i32 s42, s4, s41
	.loc	1 20 47 is_stmt 0               ; attention_fwd.py:20:47
	v_lshlrev_b64_e32 v[45:46], 1, v[1:2]
	.loc	1 20 17                         ; attention_fwd.py:20:17
	s_wait_alu depctr_sa_sdst(0)
	s_ashr_i32 s43, s42, 31
	s_wait_alu depctr_sa_sdst(0)
	s_lshl_b64 s[42:43], s[42:43], 1
	s_wait_alu depctr_sa_sdst(0)
	s_add_nc_u64 s[42:43], s[2:3], s[42:43]
	.loc	1 20 47                         ; attention_fwd.py:20:47
	s_wait_alu depctr_sa_sdst(0)
	v_add_co_u32 v45, vcc_lo, s42, v45
	s_wait_alu depctr_va_vcc(0)
	v_add_co_ci_u32_e64 v46, null, s43, v46, vcc_lo
	.loc	1 21 16 is_stmt 1               ; attention_fwd.py:21:16
	global_load_u16 v41, v[45:46], off
.LBB0_76:
	.loc	1 0 16 is_stmt 0                ; attention_fwd.py:0:16
	v_mov_b32_e32 v43, 0
	v_mov_b32_e32 v45, 0
	.loc	1 17 33 is_stmt 1               ; attention_fwd.py:17:33
	s_or_b32 s41, s5, 0x4c
	s_delay_alu instid0(SALU_CYCLE_1)
	.loc	1 21 47                         ; attention_fwd.py:21:47
	s_cmp_ge_i32 s41, s34
	.loc	1 21 16 is_stmt 0               ; attention_fwd.py:21:16
	s_cbranch_scc1 .LBB0_78
; %bb.77:
	.loc	1 20 35 is_stmt 1               ; attention_fwd.py:20:35
	s_mul_i32 s42, s4, s41
	.loc	1 20 47 is_stmt 0               ; attention_fwd.py:20:47
	v_lshlrev_b64_e32 v[45:46], 1, v[1:2]
	.loc	1 20 17                         ; attention_fwd.py:20:17
	s_wait_alu depctr_sa_sdst(0)
	s_ashr_i32 s43, s42, 31
	s_wait_alu depctr_sa_sdst(0)
	s_lshl_b64 s[42:43], s[42:43], 1
	s_wait_alu depctr_sa_sdst(0)
	s_add_nc_u64 s[42:43], s[2:3], s[42:43]
	.loc	1 20 47                         ; attention_fwd.py:20:47
	s_wait_alu depctr_sa_sdst(0)
	v_add_co_u32 v45, vcc_lo, s42, v45
	s_wait_alu depctr_va_vcc(0)
	v_add_co_ci_u32_e64 v46, null, s43, v46, vcc_lo
	.loc	1 21 16 is_stmt 1               ; attention_fwd.py:21:16
	global_load_u16 v45, v[45:46], off
.LBB0_78:
	.loc	1 17 33                         ; attention_fwd.py:17:33
	s_or_b32 s41, s5, 0x4e
	s_delay_alu instid0(SALU_CYCLE_1)
	.loc	1 21 47                         ; attention_fwd.py:21:47
	s_cmp_ge_i32 s41, s34
	.loc	1 21 16 is_stmt 0               ; attention_fwd.py:21:16
	s_cbranch_scc1 .LBB0_80
; %bb.79:
	.loc	1 20 35 is_stmt 1               ; attention_fwd.py:20:35
	s_mul_i32 s42, s4, s41
	.loc	1 20 47 is_stmt 0               ; attention_fwd.py:20:47
	v_lshlrev_b64_e32 v[46:47], 1, v[1:2]
	.loc	1 20 17                         ; attention_fwd.py:20:17
	s_wait_alu depctr_sa_sdst(0)
	s_ashr_i32 s43, s42, 31
	s_wait_alu depctr_sa_sdst(0)
	s_lshl_b64 s[42:43], s[42:43], 1
	s_wait_alu depctr_sa_sdst(0)
	s_add_nc_u64 s[42:43], s[2:3], s[42:43]
	.loc	1 20 47                         ; attention_fwd.py:20:47
	s_wait_alu depctr_sa_sdst(0)
	v_add_co_u32 v46, vcc_lo, s42, v46
	s_wait_alu depctr_va_vcc(0)
	v_add_co_ci_u32_e64 v47, null, s43, v47, vcc_lo
	.loc	1 21 16 is_stmt 1               ; attention_fwd.py:21:16
	global_load_u16 v43, v[46:47], off
.LBB0_80:
	.loc	1 0 16 is_stmt 0                ; attention_fwd.py:0:16
	v_mov_b32_e32 v46, 0
	v_mov_b32_e32 v48, 0
	.loc	1 17 33 is_stmt 1               ; attention_fwd.py:17:33
	s_or_b32 s41, s5, 0x50
	s_delay_alu instid0(SALU_CYCLE_1)
	.loc	1 21 47                         ; attention_fwd.py:21:47
	s_cmp_ge_i32 s41, s34
	.loc	1 21 16 is_stmt 0               ; attention_fwd.py:21:16
	s_cbranch_scc1 .LBB0_82
; %bb.81:
	.loc	1 20 35 is_stmt 1               ; attention_fwd.py:20:35
	s_mul_i32 s42, s4, s41
	.loc	1 20 47 is_stmt 0               ; attention_fwd.py:20:47
	v_lshlrev_b64_e32 v[47:48], 1, v[1:2]
	.loc	1 20 17                         ; attention_fwd.py:20:17
	s_wait_alu depctr_sa_sdst(0)
	s_ashr_i32 s43, s42, 31
	s_wait_alu depctr_sa_sdst(0)
	s_lshl_b64 s[42:43], s[42:43], 1
	s_wait_alu depctr_sa_sdst(0)
	s_add_nc_u64 s[42:43], s[2:3], s[42:43]
	.loc	1 20 47                         ; attention_fwd.py:20:47
	s_wait_alu depctr_sa_sdst(0)
	v_add_co_u32 v47, vcc_lo, s42, v47
	s_wait_alu depctr_va_vcc(0)
	v_add_co_ci_u32_e64 v48, null, s43, v48, vcc_lo
	.loc	1 21 16 is_stmt 1               ; attention_fwd.py:21:16
	global_load_u16 v48, v[47:48], off
.LBB0_82:
	.loc	1 17 33                         ; attention_fwd.py:17:33
	s_or_b32 s41, s5, 0x52
	s_delay_alu instid0(SALU_CYCLE_1)
	.loc	1 21 47                         ; attention_fwd.py:21:47
	s_cmp_ge_i32 s41, s34
	.loc	1 21 16 is_stmt 0               ; attention_fwd.py:21:16
	s_cbranch_scc1 .LBB0_84
; %bb.83:
	.loc	1 20 35 is_stmt 1               ; attention_fwd.py:20:35
	s_mul_i32 s42, s4, s41
	.loc	1 20 47 is_stmt 0               ; attention_fwd.py:20:47
	v_lshlrev_b64_e32 v[46:47], 1, v[1:2]
	.loc	1 20 17                         ; attention_fwd.py:20:17
	s_wait_alu depctr_sa_sdst(0)
	s_ashr_i32 s43, s42, 31
	s_wait_alu depctr_sa_sdst(0)
	s_lshl_b64 s[42:43], s[42:43], 1
	s_wait_alu depctr_sa_sdst(0)
	s_add_nc_u64 s[42:43], s[2:3], s[42:43]
	.loc	1 20 47                         ; attention_fwd.py:20:47
	s_wait_alu depctr_sa_sdst(0)
	v_add_co_u32 v46, vcc_lo, s42, v46
	s_wait_alu depctr_va_vcc(0)
	v_add_co_ci_u32_e64 v47, null, s43, v47, vcc_lo
	.loc	1 21 16 is_stmt 1               ; attention_fwd.py:21:16
	global_load_u16 v46, v[46:47], off
.LBB0_84:
	.loc	1 0 16 is_stmt 0                ; attention_fwd.py:0:16
	v_dual_mov_b32 v47, 0 :: v_dual_mov_b32 v50, 0
	.loc	1 17 33 is_stmt 1               ; attention_fwd.py:17:33
	s_or_b32 s41, s5, 0x54
	s_delay_alu instid0(SALU_CYCLE_1)
	.loc	1 21 47                         ; attention_fwd.py:21:47
	s_cmp_ge_i32 s41, s34
	.loc	1 21 16 is_stmt 0               ; attention_fwd.py:21:16
	s_cbranch_scc1 .LBB0_86
; %bb.85:
	.loc	1 20 35 is_stmt 1               ; attention_fwd.py:20:35
	s_mul_i32 s42, s4, s41
	.loc	1 20 47 is_stmt 0               ; attention_fwd.py:20:47
	v_lshlrev_b64_e32 v[49:50], 1, v[1:2]
	.loc	1 20 17                         ; attention_fwd.py:20:17
	s_wait_alu depctr_sa_sdst(0)
	s_ashr_i32 s43, s42, 31
	s_wait_alu depctr_sa_sdst(0)
	s_lshl_b64 s[42:43], s[42:43], 1
	s_wait_alu depctr_sa_sdst(0)
	s_add_nc_u64 s[42:43], s[2:3], s[42:43]
	.loc	1 20 47                         ; attention_fwd.py:20:47
	s_wait_alu depctr_sa_sdst(0)
	v_add_co_u32 v49, vcc_lo, s42, v49
	s_wait_alu depctr_va_vcc(0)
	v_add_co_ci_u32_e64 v50, null, s43, v50, vcc_lo
	.loc	1 21 16 is_stmt 1               ; attention_fwd.py:21:16
	global_load_u16 v50, v[49:50], off
.LBB0_86:
	.loc	1 17 33                         ; attention_fwd.py:17:33
	s_or_b32 s41, s5, 0x56
	s_delay_alu instid0(SALU_CYCLE_1)
	.loc	1 21 47                         ; attention_fwd.py:21:47
	s_cmp_ge_i32 s41, s34
	.loc	1 21 16 is_stmt 0               ; attention_fwd.py:21:16
	s_cbranch_scc1 .LBB0_88
; %bb.87:
	.loc	1 20 35 is_stmt 1               ; attention_fwd.py:20:35
	s_mul_i32 s42, s4, s41
	.loc	1 20 47 is_stmt 0               ; attention_fwd.py:20:47
	v_lshlrev_b64_e32 v[51:52], 1, v[1:2]
	.loc	1 20 17                         ; attention_fwd.py:20:17
	s_wait_alu depctr_sa_sdst(0)
	s_ashr_i32 s43, s42, 31
	s_wait_alu depctr_sa_sdst(0)
	s_lshl_b64 s[42:43], s[42:43], 1
	s_wait_alu depctr_sa_sdst(0)
	s_add_nc_u64 s[42:43], s[2:3], s[42:43]
	.loc	1 20 47                         ; attention_fwd.py:20:47
	s_wait_alu depctr_sa_sdst(0)
	v_add_co_u32 v51, vcc_lo, s42, v51
	s_wait_alu depctr_va_vcc(0)
	v_add_co_ci_u32_e64 v52, null, s43, v52, vcc_lo
	.loc	1 21 16 is_stmt 1               ; attention_fwd.py:21:16
	global_load_u16 v47, v[51:52], off
.LBB0_88:
	.loc	1 0 16 is_stmt 0                ; attention_fwd.py:0:16
	v_dual_mov_b32 v49, 0 :: v_dual_mov_b32 v52, 0
	.loc	1 17 33 is_stmt 1               ; attention_fwd.py:17:33
	s_or_b32 s41, s5, 0x58
	s_delay_alu instid0(SALU_CYCLE_1)
	.loc	1 21 47                         ; attention_fwd.py:21:47
	s_cmp_ge_i32 s41, s34
	.loc	1 21 16 is_stmt 0               ; attention_fwd.py:21:16
	s_cbranch_scc1 .LBB0_90
; %bb.89:
	.loc	1 20 35 is_stmt 1               ; attention_fwd.py:20:35
	s_mul_i32 s42, s4, s41
	.loc	1 20 47 is_stmt 0               ; attention_fwd.py:20:47
	v_lshlrev_b64_e32 v[51:52], 1, v[1:2]
	.loc	1 20 17                         ; attention_fwd.py:20:17
	s_wait_alu depctr_sa_sdst(0)
	s_ashr_i32 s43, s42, 31
	s_wait_alu depctr_sa_sdst(0)
	s_lshl_b64 s[42:43], s[42:43], 1
	s_wait_alu depctr_sa_sdst(0)
	s_add_nc_u64 s[42:43], s[2:3], s[42:43]
	.loc	1 20 47                         ; attention_fwd.py:20:47
	s_wait_alu depctr_sa_sdst(0)
	v_add_co_u32 v51, vcc_lo, s42, v51
	s_wait_alu depctr_va_vcc(0)
	v_add_co_ci_u32_e64 v52, null, s43, v52, vcc_lo
	.loc	1 21 16 is_stmt 1               ; attention_fwd.py:21:16
	global_load_u16 v52, v[51:52], off
.LBB0_90:
	.loc	1 17 33                         ; attention_fwd.py:17:33
	s_or_b32 s41, s5, 0x5a
	s_delay_alu instid0(SALU_CYCLE_1)
	.loc	1 21 47                         ; attention_fwd.py:21:47
	s_cmp_ge_i32 s41, s34
	.loc	1 21 16 is_stmt 0               ; attention_fwd.py:21:16
	s_cbranch_scc1 .LBB0_92
; %bb.91:
	.loc	1 20 35 is_stmt 1               ; attention_fwd.py:20:35
	s_mul_i32 s42, s4, s41
	.loc	1 20 47 is_stmt 0               ; attention_fwd.py:20:47
	v_lshlrev_b64_e32 v[53:54], 1, v[1:2]
	.loc	1 20 17                         ; attention_fwd.py:20:17
	s_wait_alu depctr_sa_sdst(0)
	s_ashr_i32 s43, s42, 31
	s_wait_alu depctr_sa_sdst(0)
	s_lshl_b64 s[42:43], s[42:43], 1
	s_wait_alu depctr_sa_sdst(0)
	s_add_nc_u64 s[42:43], s[2:3], s[42:43]
	.loc	1 20 47                         ; attention_fwd.py:20:47
	s_wait_alu depctr_sa_sdst(0)
	v_add_co_u32 v53, vcc_lo, s42, v53
	s_wait_alu depctr_va_vcc(0)
	v_add_co_ci_u32_e64 v54, null, s43, v54, vcc_lo
	.loc	1 21 16 is_stmt 1               ; attention_fwd.py:21:16
	global_load_u16 v49, v[53:54], off
.LBB0_92:
	.loc	1 0 16 is_stmt 0                ; attention_fwd.py:0:16
	v_mov_b32_e32 v51, 0
	v_mov_b32_e32 v53, 0
	.loc	1 17 33 is_stmt 1               ; attention_fwd.py:17:33
	s_or_b32 s41, s5, 0x5c
	s_delay_alu instid0(SALU_CYCLE_1)
	.loc	1 21 47                         ; attention_fwd.py:21:47
	s_cmp_ge_i32 s41, s34
	.loc	1 21 16 is_stmt 0               ; attention_fwd.py:21:16
	s_cbranch_scc1 .LBB0_94
; %bb.93:
	.loc	1 20 35 is_stmt 1               ; attention_fwd.py:20:35
	s_mul_i32 s42, s4, s41
	.loc	1 20 47 is_stmt 0               ; attention_fwd.py:20:47
	v_lshlrev_b64_e32 v[53:54], 1, v[1:2]
	.loc	1 20 17                         ; attention_fwd.py:20:17
	s_wait_alu depctr_sa_sdst(0)
	s_ashr_i32 s43, s42, 31
	s_wait_alu depctr_sa_sdst(0)
	s_lshl_b64 s[42:43], s[42:43], 1
	s_wait_alu depctr_sa_sdst(0)
	s_add_nc_u64 s[42:43], s[2:3], s[42:43]
	.loc	1 20 47                         ; attention_fwd.py:20:47
	s_wait_alu depctr_sa_sdst(0)
	v_add_co_u32 v53, vcc_lo, s42, v53
	s_wait_alu depctr_va_vcc(0)
	v_add_co_ci_u32_e64 v54, null, s43, v54, vcc_lo
	.loc	1 21 16 is_stmt 1               ; attention_fwd.py:21:16
	global_load_u16 v53, v[53:54], off
.LBB0_94:
	.loc	1 17 33                         ; attention_fwd.py:17:33
	s_or_b32 s41, s5, 0x5e
	s_delay_alu instid0(SALU_CYCLE_1)
	.loc	1 21 47                         ; attention_fwd.py:21:47
	s_cmp_ge_i32 s41, s34
	.loc	1 21 16 is_stmt 0               ; attention_fwd.py:21:16
	s_cbranch_scc1 .LBB0_96
; %bb.95:
	.loc	1 20 35 is_stmt 1               ; attention_fwd.py:20:35
	s_mul_i32 s42, s4, s41
	.loc	1 20 47 is_stmt 0               ; attention_fwd.py:20:47
	v_lshlrev_b64_e32 v[54:55], 1, v[1:2]
	.loc	1 20 17                         ; attention_fwd.py:20:17
	s_wait_alu depctr_sa_sdst(0)
	s_ashr_i32 s43, s42, 31
	s_wait_alu depctr_sa_sdst(0)
	s_lshl_b64 s[42:43], s[42:43], 1
	s_wait_alu depctr_sa_sdst(0)
	s_add_nc_u64 s[42:43], s[2:3], s[42:43]
	.loc	1 20 47                         ; attention_fwd.py:20:47
	s_wait_alu depctr_sa_sdst(0)
	v_add_co_u32 v54, vcc_lo, s42, v54
	s_wait_alu depctr_va_vcc(0)
	v_add_co_ci_u32_e64 v55, null, s43, v55, vcc_lo
	.loc	1 21 16 is_stmt 1               ; attention_fwd.py:21:16
	global_load_u16 v51, v[54:55], off
.LBB0_96:
	.loc	1 0 16 is_stmt 0                ; attention_fwd.py:0:16
	v_mov_b32_e32 v54, 0
	v_mov_b32_e32 v56, 0
	.loc	1 17 33 is_stmt 1               ; attention_fwd.py:17:33
	s_or_b32 s41, s5, 0x60
	s_delay_alu instid0(SALU_CYCLE_1)
	.loc	1 21 47                         ; attention_fwd.py:21:47
	s_cmp_ge_i32 s41, s34
	.loc	1 21 16 is_stmt 0               ; attention_fwd.py:21:16
	s_cbranch_scc1 .LBB0_98
; %bb.97:
	.loc	1 20 35 is_stmt 1               ; attention_fwd.py:20:35
	s_mul_i32 s42, s4, s41
	.loc	1 20 47 is_stmt 0               ; attention_fwd.py:20:47
	v_lshlrev_b64_e32 v[55:56], 1, v[1:2]
	.loc	1 20 17                         ; attention_fwd.py:20:17
	s_wait_alu depctr_sa_sdst(0)
	s_ashr_i32 s43, s42, 31
	s_wait_alu depctr_sa_sdst(0)
	s_lshl_b64 s[42:43], s[42:43], 1
	s_wait_alu depctr_sa_sdst(0)
	s_add_nc_u64 s[42:43], s[2:3], s[42:43]
	.loc	1 20 47                         ; attention_fwd.py:20:47
	s_wait_alu depctr_sa_sdst(0)
	v_add_co_u32 v55, vcc_lo, s42, v55
	s_wait_alu depctr_va_vcc(0)
	v_add_co_ci_u32_e64 v56, null, s43, v56, vcc_lo
	.loc	1 21 16 is_stmt 1               ; attention_fwd.py:21:16
	global_load_u16 v56, v[55:56], off
.LBB0_98:
	.loc	1 17 33                         ; attention_fwd.py:17:33
	s_or_b32 s41, s5, 0x62
	s_delay_alu instid0(SALU_CYCLE_1)
	.loc	1 21 47                         ; attention_fwd.py:21:47
	s_cmp_ge_i32 s41, s34
	.loc	1 21 16 is_stmt 0               ; attention_fwd.py:21:16
	s_cbranch_scc1 .LBB0_100
; %bb.99:
	.loc	1 20 35 is_stmt 1               ; attention_fwd.py:20:35
	s_mul_i32 s42, s4, s41
	.loc	1 20 47 is_stmt 0               ; attention_fwd.py:20:47
	v_lshlrev_b64_e32 v[54:55], 1, v[1:2]
	.loc	1 20 17                         ; attention_fwd.py:20:17
	s_wait_alu depctr_sa_sdst(0)
	s_ashr_i32 s43, s42, 31
	s_wait_alu depctr_sa_sdst(0)
	s_lshl_b64 s[42:43], s[42:43], 1
	s_wait_alu depctr_sa_sdst(0)
	s_add_nc_u64 s[42:43], s[2:3], s[42:43]
	.loc	1 20 47                         ; attention_fwd.py:20:47
	s_wait_alu depctr_sa_sdst(0)
	v_add_co_u32 v54, vcc_lo, s42, v54
	s_wait_alu depctr_va_vcc(0)
	v_add_co_ci_u32_e64 v55, null, s43, v55, vcc_lo
	.loc	1 21 16 is_stmt 1               ; attention_fwd.py:21:16
	global_load_u16 v54, v[54:55], off
.LBB0_100:
	.loc	1 0 16 is_stmt 0                ; attention_fwd.py:0:16
	v_dual_mov_b32 v55, 0 :: v_dual_mov_b32 v58, 0
	.loc	1 17 33 is_stmt 1               ; attention_fwd.py:17:33
	s_or_b32 s41, s5, 0x64
	s_delay_alu instid0(SALU_CYCLE_1)
	.loc	1 21 47                         ; attention_fwd.py:21:47
	s_cmp_ge_i32 s41, s34
	.loc	1 21 16 is_stmt 0               ; attention_fwd.py:21:16
	s_cbranch_scc1 .LBB0_102
; %bb.101:
	.loc	1 20 35 is_stmt 1               ; attention_fwd.py:20:35
	s_mul_i32 s42, s4, s41
	.loc	1 20 47 is_stmt 0               ; attention_fwd.py:20:47
	v_lshlrev_b64_e32 v[57:58], 1, v[1:2]
	.loc	1 20 17                         ; attention_fwd.py:20:17
	s_wait_alu depctr_sa_sdst(0)
	s_ashr_i32 s43, s42, 31
	s_wait_alu depctr_sa_sdst(0)
	s_lshl_b64 s[42:43], s[42:43], 1
	s_wait_alu depctr_sa_sdst(0)
	s_add_nc_u64 s[42:43], s[2:3], s[42:43]
	.loc	1 20 47                         ; attention_fwd.py:20:47
	s_wait_alu depctr_sa_sdst(0)
	v_add_co_u32 v57, vcc_lo, s42, v57
	s_wait_alu depctr_va_vcc(0)
	v_add_co_ci_u32_e64 v58, null, s43, v58, vcc_lo
	.loc	1 21 16 is_stmt 1               ; attention_fwd.py:21:16
	global_load_u16 v58, v[57:58], off
.LBB0_102:
	.loc	1 17 33                         ; attention_fwd.py:17:33
	s_or_b32 s41, s5, 0x66
	s_delay_alu instid0(SALU_CYCLE_1)
	.loc	1 21 47                         ; attention_fwd.py:21:47
	s_cmp_ge_i32 s41, s34
	.loc	1 21 16 is_stmt 0               ; attention_fwd.py:21:16
	s_cbranch_scc1 .LBB0_104
; %bb.103:
	.loc	1 20 35 is_stmt 1               ; attention_fwd.py:20:35
	s_mul_i32 s42, s4, s41
	.loc	1 20 47 is_stmt 0               ; attention_fwd.py:20:47
	v_lshlrev_b64_e32 v[59:60], 1, v[1:2]
	.loc	1 20 17                         ; attention_fwd.py:20:17
	s_wait_alu depctr_sa_sdst(0)
	s_ashr_i32 s43, s42, 31
	s_wait_alu depctr_sa_sdst(0)
	s_lshl_b64 s[42:43], s[42:43], 1
	s_wait_alu depctr_sa_sdst(0)
	s_add_nc_u64 s[42:43], s[2:3], s[42:43]
	.loc	1 20 47                         ; attention_fwd.py:20:47
	s_wait_alu depctr_sa_sdst(0)
	v_add_co_u32 v59, vcc_lo, s42, v59
	s_wait_alu depctr_va_vcc(0)
	v_add_co_ci_u32_e64 v60, null, s43, v60, vcc_lo
	.loc	1 21 16 is_stmt 1               ; attention_fwd.py:21:16
	global_load_u16 v55, v[59:60], off
.LBB0_104:
	.loc	1 0 16 is_stmt 0                ; attention_fwd.py:0:16
	v_dual_mov_b32 v57, 0 :: v_dual_mov_b32 v60, 0
	.loc	1 17 33 is_stmt 1               ; attention_fwd.py:17:33
	s_or_b32 s41, s5, 0x68
	s_delay_alu instid0(SALU_CYCLE_1)
	.loc	1 21 47                         ; attention_fwd.py:21:47
	s_cmp_ge_i32 s41, s34
	.loc	1 21 16 is_stmt 0               ; attention_fwd.py:21:16
	s_cbranch_scc1 .LBB0_106
; %bb.105:
	.loc	1 20 35 is_stmt 1               ; attention_fwd.py:20:35
	s_mul_i32 s42, s4, s41
	.loc	1 20 47 is_stmt 0               ; attention_fwd.py:20:47
	v_lshlrev_b64_e32 v[59:60], 1, v[1:2]
	.loc	1 20 17                         ; attention_fwd.py:20:17
	s_wait_alu depctr_sa_sdst(0)
	s_ashr_i32 s43, s42, 31
	s_wait_alu depctr_sa_sdst(0)
	s_lshl_b64 s[42:43], s[42:43], 1
	s_wait_alu depctr_sa_sdst(0)
	s_add_nc_u64 s[42:43], s[2:3], s[42:43]
	.loc	1 20 47                         ; attention_fwd.py:20:47
	s_wait_alu depctr_sa_sdst(0)
	v_add_co_u32 v59, vcc_lo, s42, v59
	s_wait_alu depctr_va_vcc(0)
	v_add_co_ci_u32_e64 v60, null, s43, v60, vcc_lo
	.loc	1 21 16 is_stmt 1               ; attention_fwd.py:21:16
	global_load_u16 v60, v[59:60], off
.LBB0_106:
	.loc	1 17 33                         ; attention_fwd.py:17:33
	s_or_b32 s41, s5, 0x6a
	s_delay_alu instid0(SALU_CYCLE_1)
	.loc	1 21 47                         ; attention_fwd.py:21:47
	s_cmp_ge_i32 s41, s34
	.loc	1 21 16 is_stmt 0               ; attention_fwd.py:21:16
	s_cbranch_scc1 .LBB0_108
; %bb.107:
	.loc	1 20 35 is_stmt 1               ; attention_fwd.py:20:35
	s_mul_i32 s42, s4, s41
	.loc	1 20 47 is_stmt 0               ; attention_fwd.py:20:47
	v_lshlrev_b64_e32 v[61:62], 1, v[1:2]
	.loc	1 20 17                         ; attention_fwd.py:20:17
	s_wait_alu depctr_sa_sdst(0)
	s_ashr_i32 s43, s42, 31
	s_wait_alu depctr_sa_sdst(0)
	s_lshl_b64 s[42:43], s[42:43], 1
	s_wait_alu depctr_sa_sdst(0)
	s_add_nc_u64 s[42:43], s[2:3], s[42:43]
	.loc	1 20 47                         ; attention_fwd.py:20:47
	s_wait_alu depctr_sa_sdst(0)
	v_add_co_u32 v61, vcc_lo, s42, v61
	s_wait_alu depctr_va_vcc(0)
	v_add_co_ci_u32_e64 v62, null, s43, v62, vcc_lo
	.loc	1 21 16 is_stmt 1               ; attention_fwd.py:21:16
	global_load_u16 v57, v[61:62], off
.LBB0_108:
	.loc	1 0 16 is_stmt 0                ; attention_fwd.py:0:16
	v_mov_b32_e32 v59, 0
	v_mov_b32_e32 v61, 0
	.loc	1 17 33 is_stmt 1               ; attention_fwd.py:17:33
	s_or_b32 s41, s5, 0x6c
	s_delay_alu instid0(SALU_CYCLE_1)
	.loc	1 21 47                         ; attention_fwd.py:21:47
	s_cmp_ge_i32 s41, s34
	.loc	1 21 16 is_stmt 0               ; attention_fwd.py:21:16
	s_cbranch_scc1 .LBB0_110
; %bb.109:
	.loc	1 20 35 is_stmt 1               ; attention_fwd.py:20:35
	s_mul_i32 s42, s4, s41
	.loc	1 20 47 is_stmt 0               ; attention_fwd.py:20:47
	v_lshlrev_b64_e32 v[61:62], 1, v[1:2]
	.loc	1 20 17                         ; attention_fwd.py:20:17
	s_wait_alu depctr_sa_sdst(0)
	s_ashr_i32 s43, s42, 31
	s_wait_alu depctr_sa_sdst(0)
	s_lshl_b64 s[42:43], s[42:43], 1
	s_wait_alu depctr_sa_sdst(0)
	s_add_nc_u64 s[42:43], s[2:3], s[42:43]
	.loc	1 20 47                         ; attention_fwd.py:20:47
	s_wait_alu depctr_sa_sdst(0)
	v_add_co_u32 v61, vcc_lo, s42, v61
	s_wait_alu depctr_va_vcc(0)
	v_add_co_ci_u32_e64 v62, null, s43, v62, vcc_lo
	.loc	1 21 16 is_stmt 1               ; attention_fwd.py:21:16
	global_load_u16 v61, v[61:62], off
.LBB0_110:
	.loc	1 17 33                         ; attention_fwd.py:17:33
	s_or_b32 s41, s5, 0x6e
	s_delay_alu instid0(SALU_CYCLE_1)
	.loc	1 21 47                         ; attention_fwd.py:21:47
	s_cmp_ge_i32 s41, s34
	.loc	1 21 16 is_stmt 0               ; attention_fwd.py:21:16
	s_cbranch_scc1 .LBB0_112
; %bb.111:
	.loc	1 20 35 is_stmt 1               ; attention_fwd.py:20:35
	s_mul_i32 s42, s4, s41
	.loc	1 20 47 is_stmt 0               ; attention_fwd.py:20:47
	v_lshlrev_b64_e32 v[62:63], 1, v[1:2]
	.loc	1 20 17                         ; attention_fwd.py:20:17
	s_wait_alu depctr_sa_sdst(0)
	s_ashr_i32 s43, s42, 31
	s_wait_alu depctr_sa_sdst(0)
	s_lshl_b64 s[42:43], s[42:43], 1
	s_wait_alu depctr_sa_sdst(0)
	s_add_nc_u64 s[42:43], s[2:3], s[42:43]
	.loc	1 20 47                         ; attention_fwd.py:20:47
	s_wait_alu depctr_sa_sdst(0)
	v_add_co_u32 v62, vcc_lo, s42, v62
	s_wait_alu depctr_va_vcc(0)
	v_add_co_ci_u32_e64 v63, null, s43, v63, vcc_lo
	.loc	1 21 16 is_stmt 1               ; attention_fwd.py:21:16
	global_load_u16 v59, v[62:63], off
.LBB0_112:
	.loc	1 0 16 is_stmt 0                ; attention_fwd.py:0:16
	v_mov_b32_e32 v62, 0
	v_mov_b32_e32 v64, 0
	.loc	1 17 33 is_stmt 1               ; attention_fwd.py:17:33
	s_or_b32 s41, s5, 0x70
	s_delay_alu instid0(SALU_CYCLE_1)
	.loc	1 21 47                         ; attention_fwd.py:21:47
	s_cmp_ge_i32 s41, s34
	.loc	1 21 16 is_stmt 0               ; attention_fwd.py:21:16
	s_cbranch_scc1 .LBB0_114
; %bb.113:
	.loc	1 20 35 is_stmt 1               ; attention_fwd.py:20:35
	s_mul_i32 s42, s4, s41
	.loc	1 20 47 is_stmt 0               ; attention_fwd.py:20:47
	v_lshlrev_b64_e32 v[63:64], 1, v[1:2]
	.loc	1 20 17                         ; attention_fwd.py:20:17
	s_wait_alu depctr_sa_sdst(0)
	s_ashr_i32 s43, s42, 31
	s_wait_alu depctr_sa_sdst(0)
	s_lshl_b64 s[42:43], s[42:43], 1
	s_wait_alu depctr_sa_sdst(0)
	s_add_nc_u64 s[42:43], s[2:3], s[42:43]
	.loc	1 20 47                         ; attention_fwd.py:20:47
	s_wait_alu depctr_sa_sdst(0)
	v_add_co_u32 v63, vcc_lo, s42, v63
	s_wait_alu depctr_va_vcc(0)
	v_add_co_ci_u32_e64 v64, null, s43, v64, vcc_lo
	.loc	1 21 16 is_stmt 1               ; attention_fwd.py:21:16
	global_load_u16 v64, v[63:64], off
.LBB0_114:
	.loc	1 17 33                         ; attention_fwd.py:17:33
	s_or_b32 s41, s5, 0x72
	s_delay_alu instid0(SALU_CYCLE_1)
	.loc	1 21 47                         ; attention_fwd.py:21:47
	s_cmp_ge_i32 s41, s34
	.loc	1 21 16 is_stmt 0               ; attention_fwd.py:21:16
	s_cbranch_scc1 .LBB0_116
; %bb.115:
	.loc	1 20 35 is_stmt 1               ; attention_fwd.py:20:35
	s_mul_i32 s42, s4, s41
	.loc	1 20 47 is_stmt 0               ; attention_fwd.py:20:47
	v_lshlrev_b64_e32 v[62:63], 1, v[1:2]
	.loc	1 20 17                         ; attention_fwd.py:20:17
	s_wait_alu depctr_sa_sdst(0)
	s_ashr_i32 s43, s42, 31
	s_wait_alu depctr_sa_sdst(0)
	s_lshl_b64 s[42:43], s[42:43], 1
	s_wait_alu depctr_sa_sdst(0)
	s_add_nc_u64 s[42:43], s[2:3], s[42:43]
	.loc	1 20 47                         ; attention_fwd.py:20:47
	s_wait_alu depctr_sa_sdst(0)
	v_add_co_u32 v62, vcc_lo, s42, v62
	s_wait_alu depctr_va_vcc(0)
	v_add_co_ci_u32_e64 v63, null, s43, v63, vcc_lo
	.loc	1 21 16 is_stmt 1               ; attention_fwd.py:21:16
	global_load_u16 v62, v[62:63], off
.LBB0_116:
	.loc	1 0 16 is_stmt 0                ; attention_fwd.py:0:16
	v_dual_mov_b32 v63, 0 :: v_dual_mov_b32 v66, 0
	.loc	1 17 33 is_stmt 1               ; attention_fwd.py:17:33
	s_or_b32 s41, s5, 0x74
	s_delay_alu instid0(SALU_CYCLE_1)
	.loc	1 21 47                         ; attention_fwd.py:21:47
	s_cmp_ge_i32 s41, s34
	.loc	1 21 16 is_stmt 0               ; attention_fwd.py:21:16
	s_cbranch_scc1 .LBB0_118
; %bb.117:
	.loc	1 20 35 is_stmt 1               ; attention_fwd.py:20:35
	s_mul_i32 s42, s4, s41
	.loc	1 20 47 is_stmt 0               ; attention_fwd.py:20:47
	v_lshlrev_b64_e32 v[65:66], 1, v[1:2]
	.loc	1 20 17                         ; attention_fwd.py:20:17
	s_wait_alu depctr_sa_sdst(0)
	s_ashr_i32 s43, s42, 31
	s_wait_alu depctr_sa_sdst(0)
	s_lshl_b64 s[42:43], s[42:43], 1
	s_wait_alu depctr_sa_sdst(0)
	s_add_nc_u64 s[42:43], s[2:3], s[42:43]
	.loc	1 20 47                         ; attention_fwd.py:20:47
	s_wait_alu depctr_sa_sdst(0)
	v_add_co_u32 v65, vcc_lo, s42, v65
	s_wait_alu depctr_va_vcc(0)
	v_add_co_ci_u32_e64 v66, null, s43, v66, vcc_lo
	.loc	1 21 16 is_stmt 1               ; attention_fwd.py:21:16
	global_load_u16 v66, v[65:66], off
.LBB0_118:
	.loc	1 17 33                         ; attention_fwd.py:17:33
	s_or_b32 s41, s5, 0x76
	s_delay_alu instid0(SALU_CYCLE_1)
	.loc	1 21 47                         ; attention_fwd.py:21:47
	s_cmp_ge_i32 s41, s34
	.loc	1 21 16 is_stmt 0               ; attention_fwd.py:21:16
	s_cbranch_scc1 .LBB0_120
; %bb.119:
	.loc	1 20 35 is_stmt 1               ; attention_fwd.py:20:35
	s_mul_i32 s42, s4, s41
	.loc	1 20 47 is_stmt 0               ; attention_fwd.py:20:47
	v_lshlrev_b64_e32 v[67:68], 1, v[1:2]
	.loc	1 20 17                         ; attention_fwd.py:20:17
	s_wait_alu depctr_sa_sdst(0)
	s_ashr_i32 s43, s42, 31
	s_wait_alu depctr_sa_sdst(0)
	s_lshl_b64 s[42:43], s[42:43], 1
	s_wait_alu depctr_sa_sdst(0)
	s_add_nc_u64 s[42:43], s[2:3], s[42:43]
	.loc	1 20 47                         ; attention_fwd.py:20:47
	s_wait_alu depctr_sa_sdst(0)
	v_add_co_u32 v67, vcc_lo, s42, v67
	s_wait_alu depctr_va_vcc(0)
	v_add_co_ci_u32_e64 v68, null, s43, v68, vcc_lo
	.loc	1 21 16 is_stmt 1               ; attention_fwd.py:21:16
	global_load_u16 v63, v[67:68], off
.LBB0_120:
	.loc	1 0 16 is_stmt 0                ; attention_fwd.py:0:16
	v_dual_mov_b32 v65, 0 :: v_dual_mov_b32 v68, 0
	.loc	1 17 33 is_stmt 1               ; attention_fwd.py:17:33
	s_or_b32 s41, s5, 0x78
	s_delay_alu instid0(SALU_CYCLE_1)
	.loc	1 21 47                         ; attention_fwd.py:21:47
	s_cmp_ge_i32 s41, s34
	.loc	1 21 16 is_stmt 0               ; attention_fwd.py:21:16
	s_cbranch_scc1 .LBB0_122
; %bb.121:
	.loc	1 20 35 is_stmt 1               ; attention_fwd.py:20:35
	s_mul_i32 s42, s4, s41
	.loc	1 20 47 is_stmt 0               ; attention_fwd.py:20:47
	v_lshlrev_b64_e32 v[67:68], 1, v[1:2]
	.loc	1 20 17                         ; attention_fwd.py:20:17
	s_wait_alu depctr_sa_sdst(0)
	s_ashr_i32 s43, s42, 31
	s_wait_alu depctr_sa_sdst(0)
	s_lshl_b64 s[42:43], s[42:43], 1
	s_wait_alu depctr_sa_sdst(0)
	s_add_nc_u64 s[42:43], s[2:3], s[42:43]
	.loc	1 20 47                         ; attention_fwd.py:20:47
	s_wait_alu depctr_sa_sdst(0)
	v_add_co_u32 v67, vcc_lo, s42, v67
	s_wait_alu depctr_va_vcc(0)
	v_add_co_ci_u32_e64 v68, null, s43, v68, vcc_lo
	.loc	1 21 16 is_stmt 1               ; attention_fwd.py:21:16
	global_load_u16 v68, v[67:68], off
.LBB0_122:
	.loc	1 17 33                         ; attention_fwd.py:17:33
	s_or_b32 s41, s5, 0x7a
	s_delay_alu instid0(SALU_CYCLE_1)
	.loc	1 21 47                         ; attention_fwd.py:21:47
	s_cmp_ge_i32 s41, s34
	.loc	1 21 16 is_stmt 0               ; attention_fwd.py:21:16
	s_cbranch_scc1 .LBB0_124
; %bb.123:
	.loc	1 20 35 is_stmt 1               ; attention_fwd.py:20:35
	s_mul_i32 s42, s4, s41
	.loc	1 20 47 is_stmt 0               ; attention_fwd.py:20:47
	v_lshlrev_b64_e32 v[69:70], 1, v[1:2]
	.loc	1 20 17                         ; attention_fwd.py:20:17
	s_wait_alu depctr_sa_sdst(0)
	s_ashr_i32 s43, s42, 31
	s_wait_alu depctr_sa_sdst(0)
	s_lshl_b64 s[42:43], s[42:43], 1
	s_wait_alu depctr_sa_sdst(0)
	s_add_nc_u64 s[42:43], s[2:3], s[42:43]
	.loc	1 20 47                         ; attention_fwd.py:20:47
	s_wait_alu depctr_sa_sdst(0)
	v_add_co_u32 v69, vcc_lo, s42, v69
	s_wait_alu depctr_va_vcc(0)
	v_add_co_ci_u32_e64 v70, null, s43, v70, vcc_lo
	.loc	1 21 16 is_stmt 1               ; attention_fwd.py:21:16
	global_load_u16 v65, v[69:70], off
.LBB0_124:
	.loc	1 0 16 is_stmt 0                ; attention_fwd.py:0:16
	v_mov_b32_e32 v67, 0
	v_mov_b32_e32 v69, 0
	.loc	1 17 33 is_stmt 1               ; attention_fwd.py:17:33
	s_or_b32 s41, s5, 0x7c
	s_delay_alu instid0(SALU_CYCLE_1)
	.loc	1 21 47                         ; attention_fwd.py:21:47
	s_cmp_ge_i32 s41, s34
	.loc	1 21 16 is_stmt 0               ; attention_fwd.py:21:16
	s_cbranch_scc1 .LBB0_126
; %bb.125:
	.loc	1 20 35 is_stmt 1               ; attention_fwd.py:20:35
	s_mul_i32 s42, s4, s41
	.loc	1 20 47 is_stmt 0               ; attention_fwd.py:20:47
	v_lshlrev_b64_e32 v[69:70], 1, v[1:2]
	.loc	1 20 17                         ; attention_fwd.py:20:17
	s_wait_alu depctr_sa_sdst(0)
	s_ashr_i32 s43, s42, 31
	s_wait_alu depctr_sa_sdst(0)
	s_lshl_b64 s[42:43], s[42:43], 1
	s_wait_alu depctr_sa_sdst(0)
	s_add_nc_u64 s[42:43], s[2:3], s[42:43]
	.loc	1 20 47                         ; attention_fwd.py:20:47
	s_wait_alu depctr_sa_sdst(0)
	v_add_co_u32 v69, vcc_lo, s42, v69
	s_wait_alu depctr_va_vcc(0)
	v_add_co_ci_u32_e64 v70, null, s43, v70, vcc_lo
	.loc	1 21 16 is_stmt 1               ; attention_fwd.py:21:16
	global_load_u16 v69, v[69:70], off
.LBB0_126:
	.loc	1 0 16 is_stmt 0                ; attention_fwd.py:0:16
	s_load_b32 s41, s[46:47], 0x30
	.loc	1 17 33 is_stmt 1               ; attention_fwd.py:17:33
	s_or_b32 s42, s5, 0x7e
	s_and_b32 s5, s39, 4
	.loc	1 21 47                         ; attention_fwd.py:21:47
	s_wait_alu depctr_sa_sdst(0)
	s_cmp_ge_i32 s42, s34
	.loc	1 21 16 is_stmt 0               ; attention_fwd.py:21:16
	s_cbranch_scc1 .LBB0_128
; %bb.127:
	.loc	1 20 35 is_stmt 1               ; attention_fwd.py:20:35
	s_mul_i32 s42, s4, s42
	.loc	1 20 47 is_stmt 0               ; attention_fwd.py:20:47
	v_lshlrev_b64_e32 v[1:2], 1, v[1:2]
	.loc	1 20 17                         ; attention_fwd.py:20:17
	s_wait_alu depctr_sa_sdst(0)
	s_ashr_i32 s43, s42, 31
	s_wait_alu depctr_sa_sdst(0)
	s_lshl_b64 s[42:43], s[42:43], 1
	s_wait_alu depctr_sa_sdst(0)
	s_add_nc_u64 s[2:3], s[2:3], s[42:43]
	s_delay_alu instid0(SALU_CYCLE_1)
	.loc	1 20 47                         ; attention_fwd.py:20:47
	v_add_co_u32 v1, vcc_lo, s2, v1
	s_wait_alu depctr_va_vcc(0)
	v_add_co_ci_u32_e64 v2, null, s3, v2, vcc_lo
	.loc	1 21 16 is_stmt 1               ; attention_fwd.py:21:16
	global_load_u16 v67, v[1:2], off
.LBB0_128:
	.loc	1 17 46                         ; attention_fwd.py:17:46
	s_and_b32 s44, s38, 0xe0
	.loc	1 21 16                         ; attention_fwd.py:21:16
	v_lshlrev_b32_e32 v1, 1, v3
	.loc	1 17 46                         ; attention_fwd.py:17:46
	s_cmp_eq_u32 s5, 0
	v_and_b32_e32 v129, 15, v0
	.loc	1 21 16                         ; attention_fwd.py:21:16
	s_cselect_b32 s2, 0, 0x110
	.loc	1 20 54                         ; attention_fwd.py:20:54
	v_and_b32_e32 v5, 16, v0
	.loc	1 21 16                         ; attention_fwd.py:21:16
	s_wait_alu depctr_sa_sdst(0)
	v_xor_b32_e32 v1, s2, v1
	s_lshl_b32 s2, s44, 7
	.loc	1 34 51                         ; attention_fwd.py:34:51
	s_cmp_lt_i32 s40, s34
	s_cselect_b32 s38, -1, 0
	s_delay_alu instid0(VALU_DEP_1)
	v_xor_b32_e32 v0, 64, v1
	v_xor_b32_e32 v2, 32, v1
	.loc	1 21 16                         ; attention_fwd.py:21:16
	v_add_nc_u32_e32 v76, 0, v1
	.loc	1 34 51                         ; attention_fwd.py:34:51
	s_cmp_ge_i32 s40, s34
	.loc	1 21 16                         ; attention_fwd.py:21:16
	s_wait_loadcnt 0x0
	ds_store_b16 v76, v8
	ds_store_b16 v76, v16 offset:4096
	ds_store_b16 v76, v24 offset:8192
	;; [unrolled: 1-line block ×7, first 2 shown]
	v_add_nc_u32_e32 v78, 0, v0
	v_xor_b32_e32 v0, 0x60, v1
	v_add_nc_u32_e32 v77, 0, v2
	ds_store_b16 v77, v6 offset:512
	ds_store_b16 v77, v14 offset:4608
	;; [unrolled: 1-line block ×8, first 2 shown]
	v_add_nc_u32_e32 v79, 0, v0
	v_xor_b32_e32 v0, 0x80, v1
	v_lshlrev_b32_e32 v6, 4, v129
	ds_store_b16 v78, v10 offset:1024
	ds_store_b16 v78, v18 offset:5120
	;; [unrolled: 1-line block ×16, first 2 shown]
	v_add_nc_u32_e32 v80, 0, v0
	v_xor_b32_e32 v0, 0xa0, v1
	ds_store_b16 v80, v12 offset:2048
	ds_store_b16 v80, v20 offset:6144
	ds_store_b16 v80, v28 offset:10240
	ds_store_b16 v80, v36 offset:14336
	ds_store_b16 v80, v44 offset:18432
	ds_store_b16 v80, v52 offset:22528
	ds_store_b16 v80, v60 offset:26624
	ds_store_b16 v80, v68 offset:30720
	v_add_nc_u32_e32 v81, 0, v0
	v_xor_b32_e32 v0, 0xc0, v1
	ds_store_b16 v81, v9 offset:2560
	ds_store_b16 v81, v17 offset:6656
	ds_store_b16 v81, v25 offset:10752
	ds_store_b16 v81, v33 offset:14848
	ds_store_b16 v81, v41 offset:18944
	ds_store_b16 v81, v49 offset:23040
	ds_store_b16 v81, v57 offset:27136
	ds_store_b16 v81, v65 offset:31232
	;; [unrolled: 10-line block ×3, first 2 shown]
	v_add_nc_u32_e32 v83, 0, v0
	ds_store_b16 v83, v11 offset:3584
	ds_store_b16 v83, v19 offset:7680
	;; [unrolled: 1-line block ×8, first 2 shown]
	s_wait_dscnt 0x0
	s_barrier_signal -1
	v_lshlrev_b32_e32 v7, 8, v129
	v_xor_b32_e32 v0, v6, v5
	v_dual_mov_b32 v64, 0 :: v_dual_mov_b32 v65, 0
	s_wait_alu depctr_sa_sdst(0)
	s_delay_alu instid0(VALU_DEP_2) | instskip(SKIP_3) | instid1(VALU_DEP_1)
	v_or3_b32 v0, s2, v0, v7
	s_clause 0x1
	s_load_b64 s[2:3], s[46:47], 0x8
	s_load_b32 s45, s[46:47], 0x2c
	v_add_nc_u32_e32 v1, 0, v0
	v_xad_u32 v2, v0, 32, 0
	v_xad_u32 v8, 0x80, v0, 0
	;; [unrolled: 1-line block ×3, first 2 shown]
	s_barrier_wait -1
	global_inv scope:SCOPE_SE
	ds_load_b128 v[124:127], v1
	ds_load_b128 v[116:119], v2
	v_xad_u32 v1, v0, 64, 0
	v_xad_u32 v2, 0x60, v0, 0
	;; [unrolled: 1-line block ×4, first 2 shown]
	ds_load_b128 v[120:123], v1
	ds_load_b128 v[112:115], v2
	ds_load_b128 v[108:111], v8
	ds_load_b128 v[104:107], v9
	ds_load_b128 v[100:103], v10
	ds_load_b128 v[96:99], v0
	.loc	1 33 69                         ; attention_fwd.py:33:69
	s_wait_kmcnt 0x0
	v_mul_lo_u32 v0, s41, v3
	s_delay_alu instid0(VALU_DEP_1) | instskip(NEXT) | instid1(VALU_DEP_1)
	.loc	1 33 51 is_stmt 0               ; attention_fwd.py:33:51
	v_ashrrev_i32_e32 v1, 31, v0
	v_lshlrev_b64_e32 v[0:1], 1, v[0:1]
	.loc	1 34 20 is_stmt 1               ; attention_fwd.py:34:20
	s_cbranch_scc1 .LBB0_130
; %bb.129:
	.loc	1 0 20 is_stmt 0                ; attention_fwd.py:0:20
	s_mul_i32 s4, s45, s40
	s_wait_alu depctr_sa_sdst(0)
	s_ashr_i32 s5, s4, 31
	s_wait_alu depctr_sa_sdst(0)
	s_lshl_b64 s[4:5], s[4:5], 1
	s_wait_alu depctr_sa_sdst(0)
	s_add_nc_u64 s[4:5], s[2:3], s[4:5]
	s_wait_alu depctr_sa_sdst(0)
	v_add_co_u32 v8, vcc_lo, s4, v0
	s_wait_alu depctr_va_vcc(0)
	v_add_co_ci_u32_e64 v9, null, s5, v1, vcc_lo
	.loc	1 34 20                         ; attention_fwd.py:34:20
	global_load_u16 v65, v[8:9], off
.LBB0_130:
	.loc	1 31 32 is_stmt 1               ; attention_fwd.py:31:32
	s_cmp_gt_i32 s34, 0
	s_cselect_b32 s4, -1, 0
	.loc	1 34 51                         ; attention_fwd.py:34:51
	s_cmp_lt_i32 s0, s34
	s_cselect_b32 s5, -1, 0
	.loc	1 31 32                         ; attention_fwd.py:31:32
	s_wait_alu depctr_sa_sdst(0)
	s_and_b32 s5, s4, s5
	.loc	1 34 20                         ; attention_fwd.py:34:20
	s_wait_alu depctr_sa_sdst(0)
	v_cndmask_b32_e64 v8, 0, 1, s5
	s_and_not1_b32 vcc_lo, exec_lo, s5
	s_wait_alu depctr_sa_sdst(0)
	s_cbranch_vccnz .LBB0_132
; %bb.131:
	.loc	1 33 39                         ; attention_fwd.py:33:39
	s_mul_i32 s42, s45, s0
	.loc	1 33 21 is_stmt 0               ; attention_fwd.py:33:21
	s_wait_alu depctr_sa_sdst(0)
	s_ashr_i32 s43, s42, 31
	s_wait_alu depctr_sa_sdst(0)
	s_lshl_b64 s[42:43], s[42:43], 1
	s_wait_alu depctr_sa_sdst(0)
	s_add_nc_u64 s[42:43], s[2:3], s[42:43]
	.loc	1 33 51                         ; attention_fwd.py:33:51
	s_wait_alu depctr_sa_sdst(0)
	v_add_co_u32 v9, vcc_lo, s42, v0
	s_wait_alu depctr_va_vcc(0)
	v_add_co_ci_u32_e64 v10, null, s43, v1, vcc_lo
	.loc	1 34 20 is_stmt 1               ; attention_fwd.py:34:20
	global_load_u16 v64, v[9:10], off
.LBB0_132:
	.loc	1 34 51 is_stmt 0               ; attention_fwd.py:34:51
	s_cmp_lt_i32 s1, s34
	v_dual_mov_b32 v66, 0 :: v_dual_mov_b32 v67, 0
	s_cselect_b32 s5, -1, 0
	.loc	1 31 32 is_stmt 1               ; attention_fwd.py:31:32
	s_wait_alu depctr_sa_sdst(0)
	s_and_b32 s5, s4, s5
	.loc	1 34 20                         ; attention_fwd.py:34:20
	s_wait_alu depctr_sa_sdst(0)
	v_cndmask_b32_e64 v9, 0, 1, s5
	s_and_not1_b32 vcc_lo, exec_lo, s5
	s_wait_alu depctr_sa_sdst(0)
	s_cbranch_vccnz .LBB0_134
; %bb.133:
	.loc	1 33 39                         ; attention_fwd.py:33:39
	s_mul_i32 s42, s45, s1
	.loc	1 33 21 is_stmt 0               ; attention_fwd.py:33:21
	s_wait_alu depctr_sa_sdst(0)
	s_ashr_i32 s43, s42, 31
	s_wait_alu depctr_sa_sdst(0)
	s_lshl_b64 s[42:43], s[42:43], 1
	s_wait_alu depctr_sa_sdst(0)
	s_add_nc_u64 s[42:43], s[2:3], s[42:43]
	.loc	1 33 51                         ; attention_fwd.py:33:51
	s_wait_alu depctr_sa_sdst(0)
	v_add_co_u32 v10, vcc_lo, s42, v0
	s_wait_alu depctr_va_vcc(0)
	v_add_co_ci_u32_e64 v11, null, s43, v1, vcc_lo
	.loc	1 34 20 is_stmt 1               ; attention_fwd.py:34:20
	global_load_u16 v67, v[10:11], off
.LBB0_134:
	.loc	1 34 51 is_stmt 0               ; attention_fwd.py:34:51
	s_cmp_lt_i32 s6, s34
	s_cselect_b32 s5, -1, 0
	.loc	1 31 32 is_stmt 1               ; attention_fwd.py:31:32
	s_wait_alu depctr_sa_sdst(0)
	s_and_b32 s5, s4, s5
	.loc	1 34 20                         ; attention_fwd.py:34:20
	s_wait_alu depctr_sa_sdst(0)
	v_cndmask_b32_e64 v10, 0, 1, s5
	s_and_not1_b32 vcc_lo, exec_lo, s5
	s_wait_alu depctr_sa_sdst(0)
	s_cbranch_vccnz .LBB0_136
; %bb.135:
	.loc	1 33 39                         ; attention_fwd.py:33:39
	s_mul_i32 s42, s45, s6
	.loc	1 33 21 is_stmt 0               ; attention_fwd.py:33:21
	s_wait_alu depctr_sa_sdst(0)
	s_ashr_i32 s43, s42, 31
	s_wait_alu depctr_sa_sdst(0)
	s_lshl_b64 s[42:43], s[42:43], 1
	s_wait_alu depctr_sa_sdst(0)
	s_add_nc_u64 s[42:43], s[2:3], s[42:43]
	.loc	1 33 51                         ; attention_fwd.py:33:51
	s_wait_alu depctr_sa_sdst(0)
	v_add_co_u32 v11, vcc_lo, s42, v0
	s_wait_alu depctr_va_vcc(0)
	v_add_co_ci_u32_e64 v12, null, s43, v1, vcc_lo
	.loc	1 34 20 is_stmt 1               ; attention_fwd.py:34:20
	global_load_u16 v66, v[11:12], off
.LBB0_136:
	.loc	1 34 51 is_stmt 0               ; attention_fwd.py:34:51
	s_cmp_lt_i32 s7, s34
	v_dual_mov_b32 v69, 0 :: v_dual_mov_b32 v70, 0
	s_cselect_b32 s5, -1, 0
	.loc	1 31 32 is_stmt 1               ; attention_fwd.py:31:32
	s_wait_alu depctr_sa_sdst(0)
	s_and_b32 s5, s4, s5
	.loc	1 34 20                         ; attention_fwd.py:34:20
	s_wait_alu depctr_sa_sdst(0)
	v_cndmask_b32_e64 v11, 0, 1, s5
	s_and_not1_b32 vcc_lo, exec_lo, s5
	s_wait_alu depctr_sa_sdst(0)
	s_cbranch_vccnz .LBB0_138
; %bb.137:
	.loc	1 33 39                         ; attention_fwd.py:33:39
	s_mul_i32 s42, s45, s7
	.loc	1 33 21 is_stmt 0               ; attention_fwd.py:33:21
	s_wait_alu depctr_sa_sdst(0)
	s_ashr_i32 s43, s42, 31
	s_wait_alu depctr_sa_sdst(0)
	s_lshl_b64 s[42:43], s[42:43], 1
	s_wait_alu depctr_sa_sdst(0)
	s_add_nc_u64 s[42:43], s[2:3], s[42:43]
	.loc	1 33 51                         ; attention_fwd.py:33:51
	s_wait_alu depctr_sa_sdst(0)
	v_add_co_u32 v12, vcc_lo, s42, v0
	s_wait_alu depctr_va_vcc(0)
	v_add_co_ci_u32_e64 v13, null, s43, v1, vcc_lo
	.loc	1 34 20 is_stmt 1               ; attention_fwd.py:34:20
	global_load_u16 v70, v[12:13], off
.LBB0_138:
	.loc	1 34 51 is_stmt 0               ; attention_fwd.py:34:51
	s_cmp_lt_i32 s8, s34
	s_cselect_b32 s5, -1, 0
	.loc	1 31 32 is_stmt 1               ; attention_fwd.py:31:32
	;; [unrolled: 61-line block ×4, first 2 shown]
	s_wait_alu depctr_sa_sdst(0)
	s_and_b32 s5, s4, s5
	.loc	1 34 20                         ; attention_fwd.py:34:20
	s_wait_alu depctr_sa_sdst(0)
	v_cndmask_b32_e64 v16, 0, 1, s5
	s_and_not1_b32 vcc_lo, exec_lo, s5
	s_wait_alu depctr_sa_sdst(0)
	s_cbranch_vccnz .LBB0_148
; %bb.147:
	.loc	1 33 39                         ; attention_fwd.py:33:39
	s_mul_i32 s42, s45, s12
	.loc	1 33 21 is_stmt 0               ; attention_fwd.py:33:21
	s_wait_alu depctr_sa_sdst(0)
	s_ashr_i32 s43, s42, 31
	s_wait_alu depctr_sa_sdst(0)
	s_lshl_b64 s[42:43], s[42:43], 1
	s_wait_alu depctr_sa_sdst(0)
	s_add_nc_u64 s[42:43], s[2:3], s[42:43]
	.loc	1 33 51                         ; attention_fwd.py:33:51
	s_wait_alu depctr_sa_sdst(0)
	v_add_co_u32 v17, vcc_lo, s42, v0
	s_wait_alu depctr_va_vcc(0)
	v_add_co_ci_u32_e64 v18, null, s43, v1, vcc_lo
	.loc	1 34 20 is_stmt 1               ; attention_fwd.py:34:20
	global_load_u16 v73, v[17:18], off
.LBB0_148:
	.loc	1 34 51 is_stmt 0               ; attention_fwd.py:34:51
	s_cmp_lt_i32 s13, s34
	v_mov_b32_e32 v75, 0
	s_cselect_b32 s5, -1, 0
	v_mov_b32_e32 v169, 0
	.loc	1 31 32 is_stmt 1               ; attention_fwd.py:31:32
	s_wait_alu depctr_sa_sdst(0)
	s_and_b32 s5, s4, s5
	.loc	1 34 20                         ; attention_fwd.py:34:20
	s_wait_alu depctr_sa_sdst(0)
	v_cndmask_b32_e64 v17, 0, 1, s5
	s_and_not1_b32 vcc_lo, exec_lo, s5
	s_wait_alu depctr_sa_sdst(0)
	s_cbranch_vccnz .LBB0_150
; %bb.149:
	.loc	1 33 39                         ; attention_fwd.py:33:39
	s_mul_i32 s42, s45, s13
	.loc	1 33 21 is_stmt 0               ; attention_fwd.py:33:21
	s_wait_alu depctr_sa_sdst(0)
	s_ashr_i32 s43, s42, 31
	s_wait_alu depctr_sa_sdst(0)
	s_lshl_b64 s[42:43], s[42:43], 1
	s_wait_alu depctr_sa_sdst(0)
	s_add_nc_u64 s[42:43], s[2:3], s[42:43]
	.loc	1 33 51                         ; attention_fwd.py:33:51
	s_wait_alu depctr_sa_sdst(0)
	v_add_co_u32 v18, vcc_lo, s42, v0
	s_wait_alu depctr_va_vcc(0)
	v_add_co_ci_u32_e64 v19, null, s43, v1, vcc_lo
	.loc	1 34 20 is_stmt 1               ; attention_fwd.py:34:20
	global_load_u16 v169, v[18:19], off
.LBB0_150:
	.loc	1 34 51 is_stmt 0               ; attention_fwd.py:34:51
	s_cmp_lt_i32 s14, s34
	s_cselect_b32 s5, -1, 0
	.loc	1 31 32 is_stmt 1               ; attention_fwd.py:31:32
	s_wait_alu depctr_sa_sdst(0)
	s_and_b32 s5, s4, s5
	.loc	1 34 20                         ; attention_fwd.py:34:20
	s_wait_alu depctr_sa_sdst(0)
	v_cndmask_b32_e64 v18, 0, 1, s5
	s_and_not1_b32 vcc_lo, exec_lo, s5
	s_wait_alu depctr_sa_sdst(0)
	s_cbranch_vccnz .LBB0_152
; %bb.151:
	.loc	1 33 39                         ; attention_fwd.py:33:39
	s_mul_i32 s42, s45, s14
	.loc	1 33 21 is_stmt 0               ; attention_fwd.py:33:21
	s_wait_alu depctr_sa_sdst(0)
	s_ashr_i32 s43, s42, 31
	s_wait_alu depctr_sa_sdst(0)
	s_lshl_b64 s[42:43], s[42:43], 1
	s_wait_alu depctr_sa_sdst(0)
	s_add_nc_u64 s[42:43], s[2:3], s[42:43]
	.loc	1 33 51                         ; attention_fwd.py:33:51
	s_wait_alu depctr_sa_sdst(0)
	v_add_co_u32 v19, vcc_lo, s42, v0
	s_wait_alu depctr_va_vcc(0)
	v_add_co_ci_u32_e64 v20, null, s43, v1, vcc_lo
	.loc	1 34 20 is_stmt 1               ; attention_fwd.py:34:20
	global_load_u16 v75, v[19:20], off
.LBB0_152:
	.loc	1 34 51 is_stmt 0               ; attention_fwd.py:34:51
	s_cmp_lt_i32 s15, s34
	v_dual_mov_b32 v170, 0 :: v_dual_mov_b32 v171, 0
	s_cselect_b32 s5, -1, 0
	.loc	1 31 32 is_stmt 1               ; attention_fwd.py:31:32
	s_wait_alu depctr_sa_sdst(0)
	s_and_b32 s5, s4, s5
	.loc	1 34 20                         ; attention_fwd.py:34:20
	s_wait_alu depctr_sa_sdst(0)
	v_cndmask_b32_e64 v19, 0, 1, s5
	s_and_not1_b32 vcc_lo, exec_lo, s5
	s_wait_alu depctr_sa_sdst(0)
	s_cbranch_vccnz .LBB0_154
; %bb.153:
	.loc	1 33 39                         ; attention_fwd.py:33:39
	s_mul_i32 s42, s45, s15
	.loc	1 33 21 is_stmt 0               ; attention_fwd.py:33:21
	s_wait_alu depctr_sa_sdst(0)
	s_ashr_i32 s43, s42, 31
	s_wait_alu depctr_sa_sdst(0)
	s_lshl_b64 s[42:43], s[42:43], 1
	s_wait_alu depctr_sa_sdst(0)
	s_add_nc_u64 s[42:43], s[2:3], s[42:43]
	.loc	1 33 51                         ; attention_fwd.py:33:51
	s_wait_alu depctr_sa_sdst(0)
	v_add_co_u32 v20, vcc_lo, s42, v0
	s_wait_alu depctr_va_vcc(0)
	v_add_co_ci_u32_e64 v21, null, s43, v1, vcc_lo
	.loc	1 34 20 is_stmt 1               ; attention_fwd.py:34:20
	global_load_u16 v171, v[20:21], off
.LBB0_154:
	.loc	1 34 51 is_stmt 0               ; attention_fwd.py:34:51
	s_cmp_lt_i32 s16, s34
	s_cselect_b32 s5, -1, 0
	.loc	1 31 32 is_stmt 1               ; attention_fwd.py:31:32
	s_wait_alu depctr_sa_sdst(0)
	s_and_b32 s5, s4, s5
	.loc	1 34 20                         ; attention_fwd.py:34:20
	s_wait_alu depctr_sa_sdst(0)
	v_cndmask_b32_e64 v20, 0, 1, s5
	s_and_not1_b32 vcc_lo, exec_lo, s5
	s_wait_alu depctr_sa_sdst(0)
	s_cbranch_vccnz .LBB0_156
; %bb.155:
	.loc	1 33 39                         ; attention_fwd.py:33:39
	s_mul_i32 s42, s45, s16
	.loc	1 33 21 is_stmt 0               ; attention_fwd.py:33:21
	s_wait_alu depctr_sa_sdst(0)
	s_ashr_i32 s43, s42, 31
	s_wait_alu depctr_sa_sdst(0)
	s_lshl_b64 s[42:43], s[42:43], 1
	s_wait_alu depctr_sa_sdst(0)
	s_add_nc_u64 s[42:43], s[2:3], s[42:43]
	.loc	1 33 51                         ; attention_fwd.py:33:51
	s_wait_alu depctr_sa_sdst(0)
	v_add_co_u32 v21, vcc_lo, s42, v0
	s_wait_alu depctr_va_vcc(0)
	v_add_co_ci_u32_e64 v22, null, s43, v1, vcc_lo
	.loc	1 34 20 is_stmt 1               ; attention_fwd.py:34:20
	global_load_u16 v170, v[21:22], off
.LBB0_156:
	.loc	1 34 51 is_stmt 0               ; attention_fwd.py:34:51
	s_cmp_lt_i32 s17, s34
	v_dual_mov_b32 v172, 0 :: v_dual_mov_b32 v173, 0
	s_cselect_b32 s5, -1, 0
	;; [unrolled: 61-line block ×10, first 2 shown]
	.loc	1 31 32 is_stmt 1               ; attention_fwd.py:31:32
	s_wait_alu depctr_sa_sdst(0)
	s_and_b32 s5, s4, s5
	.loc	1 34 20                         ; attention_fwd.py:34:20
	s_wait_alu depctr_sa_sdst(0)
	v_cndmask_b32_e64 v37, 0, 1, s5
	s_and_not1_b32 vcc_lo, exec_lo, s5
	s_wait_alu depctr_sa_sdst(0)
	s_cbranch_vccnz .LBB0_190
; %bb.189:
	.loc	1 33 39                         ; attention_fwd.py:33:39
	s_mul_i32 s42, s45, s36
	.loc	1 33 21 is_stmt 0               ; attention_fwd.py:33:21
	s_wait_alu depctr_sa_sdst(0)
	s_ashr_i32 s43, s42, 31
	s_wait_alu depctr_sa_sdst(0)
	s_lshl_b64 s[42:43], s[42:43], 1
	s_wait_alu depctr_sa_sdst(0)
	s_add_nc_u64 s[42:43], s[2:3], s[42:43]
	.loc	1 33 51                         ; attention_fwd.py:33:51
	s_wait_alu depctr_sa_sdst(0)
	v_add_co_u32 v38, vcc_lo, s42, v0
	s_wait_alu depctr_va_vcc(0)
	v_add_co_ci_u32_e64 v39, null, s43, v1, vcc_lo
	.loc	1 34 20 is_stmt 1               ; attention_fwd.py:34:20
	global_load_u16 v189, v[38:39], off
.LBB0_190:
	.loc	1 0 20 is_stmt 0                ; attention_fwd.py:0:20
	s_load_b32 s39, s[46:47], 0x38
	.loc	1 34 51                         ; attention_fwd.py:34:51
	s_cmp_lt_i32 s37, s34
	s_cselect_b32 s5, -1, 0
	.loc	1 31 32 is_stmt 1               ; attention_fwd.py:31:32
	s_wait_alu depctr_sa_sdst(0)
	s_and_b32 s4, s4, s5
	.loc	1 34 20                         ; attention_fwd.py:34:20
	s_wait_alu depctr_sa_sdst(0)
	v_cndmask_b32_e64 v38, 0, 1, s4
	s_and_not1_b32 vcc_lo, exec_lo, s4
	s_wait_alu depctr_sa_sdst(0)
	s_cbranch_vccnz .LBB0_192
; %bb.191:
	.loc	1 33 39                         ; attention_fwd.py:33:39
	s_mul_i32 s4, s45, s37
	.loc	1 33 21 is_stmt 0               ; attention_fwd.py:33:21
	s_wait_alu depctr_sa_sdst(0)
	s_ashr_i32 s5, s4, 31
	s_wait_alu depctr_sa_sdst(0)
	s_lshl_b64 s[4:5], s[4:5], 1
	s_wait_alu depctr_sa_sdst(0)
	s_add_nc_u64 s[4:5], s[2:3], s[4:5]
	.loc	1 33 51                         ; attention_fwd.py:33:51
	s_wait_alu depctr_sa_sdst(0)
	v_add_co_u32 v39, vcc_lo, s4, v0
	s_wait_alu depctr_va_vcc(0)
	v_add_co_ci_u32_e64 v40, null, s5, v1, vcc_lo
	.loc	1 34 20 is_stmt 1               ; attention_fwd.py:34:20
	global_load_u16 v188, v[39:40], off
.LBB0_192:
	.loc	1 0 20 is_stmt 0                ; attention_fwd.py:0:20
	s_clause 0x1
	s_load_b64 s[4:5], s[46:47], 0x10
	s_load_b32 s43, s[46:47], 0x34
	.loc	1 44 69 is_stmt 1               ; attention_fwd.py:44:69
	s_wait_kmcnt 0x0
	v_mul_lo_u32 v2, s39, v3
	v_dual_mov_b32 v39, 0 :: v_dual_mov_b32 v40, 0
	.loc	1 45 20                         ; attention_fwd.py:45:20
	s_and_not1_b32 vcc_lo, exec_lo, s38
	s_delay_alu instid0(VALU_DEP_2) | instskip(NEXT) | instid1(VALU_DEP_1)
	.loc	1 44 51                         ; attention_fwd.py:44:51
	v_ashrrev_i32_e32 v3, 31, v2
	v_lshlrev_b64_e32 v[2:3], 1, v[2:3]
	.loc	1 45 20                         ; attention_fwd.py:45:20
	s_wait_alu depctr_sa_sdst(0)
	s_cbranch_vccnz .LBB0_194
; %bb.193:
	.loc	1 0 20 is_stmt 0                ; attention_fwd.py:0:20
	s_mul_i32 s38, s43, s40
	s_wait_alu depctr_sa_sdst(0)
	s_ashr_i32 s39, s38, 31
	s_wait_alu depctr_sa_sdst(0)
	s_lshl_b64 s[38:39], s[38:39], 1
	s_wait_alu depctr_sa_sdst(0)
	s_add_nc_u64 s[38:39], s[4:5], s[38:39]
	s_wait_alu depctr_sa_sdst(0)
	v_add_co_u32 v40, vcc_lo, s38, v2
	s_wait_alu depctr_va_vcc(0)
	v_add_co_ci_u32_e64 v41, null, s39, v3, vcc_lo
	.loc	1 45 20                         ; attention_fwd.py:45:20
	global_load_u16 v40, v[40:41], off
.LBB0_194:
	v_cmp_ne_u32_e32 vcc_lo, 1, v8
	s_cbranch_vccnz .LBB0_196
; %bb.195:
	.loc	1 44 39 is_stmt 1               ; attention_fwd.py:44:39
	s_mul_i32 s38, s43, s0
	.loc	1 44 21 is_stmt 0               ; attention_fwd.py:44:21
	s_wait_alu depctr_sa_sdst(0)
	s_ashr_i32 s39, s38, 31
	s_wait_alu depctr_sa_sdst(0)
	s_lshl_b64 s[38:39], s[38:39], 1
	s_wait_alu depctr_sa_sdst(0)
	s_add_nc_u64 s[38:39], s[4:5], s[38:39]
	.loc	1 44 51                         ; attention_fwd.py:44:51
	s_wait_alu depctr_sa_sdst(0)
	v_add_co_u32 v41, vcc_lo, s38, v2
	s_wait_alu depctr_va_vcc(0)
	v_add_co_ci_u32_e64 v42, null, s39, v3, vcc_lo
	.loc	1 45 20 is_stmt 1               ; attention_fwd.py:45:20
	global_load_u16 v39, v[41:42], off
.LBB0_196:
	v_cmp_ne_u32_e32 vcc_lo, 1, v9
	v_dual_mov_b32 v8, 0 :: v_dual_mov_b32 v9, 0
	s_cbranch_vccnz .LBB0_198
; %bb.197:
	.loc	1 44 39                         ; attention_fwd.py:44:39
	s_mul_i32 s0, s43, s1
	.loc	1 44 21 is_stmt 0               ; attention_fwd.py:44:21
	s_wait_alu depctr_sa_sdst(0)
	s_ashr_i32 s1, s0, 31
	s_wait_alu depctr_sa_sdst(0)
	s_lshl_b64 s[0:1], s[0:1], 1
	s_wait_alu depctr_sa_sdst(0)
	s_add_nc_u64 s[0:1], s[4:5], s[0:1]
	.loc	1 44 51                         ; attention_fwd.py:44:51
	s_wait_alu depctr_sa_sdst(0)
	v_add_co_u32 v41, vcc_lo, s0, v2
	s_wait_alu depctr_va_vcc(0)
	v_add_co_ci_u32_e64 v42, null, s1, v3, vcc_lo
	.loc	1 45 20 is_stmt 1               ; attention_fwd.py:45:20
	global_load_u16 v9, v[41:42], off
.LBB0_198:
	v_cmp_ne_u32_e32 vcc_lo, 1, v10
	s_cbranch_vccnz .LBB0_200
; %bb.199:
	.loc	1 44 39                         ; attention_fwd.py:44:39
	s_mul_i32 s0, s43, s6
	.loc	1 44 21 is_stmt 0               ; attention_fwd.py:44:21
	s_wait_alu depctr_sa_sdst(0)
	s_ashr_i32 s1, s0, 31
	s_wait_alu depctr_sa_sdst(0)
	s_lshl_b64 s[0:1], s[0:1], 1
	s_wait_alu depctr_sa_sdst(0)
	s_add_nc_u64 s[0:1], s[4:5], s[0:1]
	.loc	1 44 51                         ; attention_fwd.py:44:51
	s_wait_alu depctr_sa_sdst(0)
	v_add_co_u32 v41, vcc_lo, s0, v2
	s_wait_alu depctr_va_vcc(0)
	v_add_co_ci_u32_e64 v42, null, s1, v3, vcc_lo
	.loc	1 45 20 is_stmt 1               ; attention_fwd.py:45:20
	global_load_u16 v8, v[41:42], off
.LBB0_200:
	v_cmp_ne_u32_e32 vcc_lo, 1, v11
	v_dual_mov_b32 v10, 0 :: v_dual_mov_b32 v11, 0
	s_cbranch_vccnz .LBB0_202
; %bb.201:
	.loc	1 44 39                         ; attention_fwd.py:44:39
	s_mul_i32 s0, s43, s7
	.loc	1 44 21 is_stmt 0               ; attention_fwd.py:44:21
	s_wait_alu depctr_sa_sdst(0)
	s_ashr_i32 s1, s0, 31
	s_wait_alu depctr_sa_sdst(0)
	s_lshl_b64 s[0:1], s[0:1], 1
	s_wait_alu depctr_sa_sdst(0)
	s_add_nc_u64 s[0:1], s[4:5], s[0:1]
	.loc	1 44 51                         ; attention_fwd.py:44:51
	s_wait_alu depctr_sa_sdst(0)
	v_add_co_u32 v41, vcc_lo, s0, v2
	s_wait_alu depctr_va_vcc(0)
	v_add_co_ci_u32_e64 v42, null, s1, v3, vcc_lo
	.loc	1 45 20 is_stmt 1               ; attention_fwd.py:45:20
	global_load_u16 v11, v[41:42], off
.LBB0_202:
	v_cmp_ne_u32_e32 vcc_lo, 1, v12
	s_cbranch_vccnz .LBB0_204
; %bb.203:
	.loc	1 44 39                         ; attention_fwd.py:44:39
	s_mul_i32 s0, s43, s8
	.loc	1 44 21 is_stmt 0               ; attention_fwd.py:44:21
	s_wait_alu depctr_sa_sdst(0)
	s_ashr_i32 s1, s0, 31
	s_wait_alu depctr_sa_sdst(0)
	s_lshl_b64 s[0:1], s[0:1], 1
	s_wait_alu depctr_sa_sdst(0)
	s_add_nc_u64 s[0:1], s[4:5], s[0:1]
	.loc	1 44 51                         ; attention_fwd.py:44:51
	s_wait_alu depctr_sa_sdst(0)
	v_add_co_u32 v41, vcc_lo, s0, v2
	s_wait_alu depctr_va_vcc(0)
	v_add_co_ci_u32_e64 v42, null, s1, v3, vcc_lo
	.loc	1 45 20 is_stmt 1               ; attention_fwd.py:45:20
	global_load_u16 v10, v[41:42], off
.LBB0_204:
	;; [unrolled: 41-line block ×15, first 2 shown]
	v_lshlrev_b32_e32 v4, 1, v4
	s_load_b96 s[36:38], s[46:47], 0x18
	s_wait_loadcnt_dscnt 0x0
	s_barrier_signal -1
	.loc	1 20 54                         ; attention_fwd.py:20:54
	v_lshrrev_b32_e32 v128, 1, v5
	.loc	1 45 20                         ; attention_fwd.py:45:20
	v_and_b32_e32 v4, 0x1fe, v4
	v_lshl_add_u32 v130, v5, 7, 0
	.loc	1 31 32                         ; attention_fwd.py:31:32
	s_sub_co_i32 s42, s34, 64
	.loc	1 45 20                         ; attention_fwd.py:45:20
	s_mov_b32 s41, 0
	.loc	1 31 32                         ; attention_fwd.py:31:32
	s_wait_alu depctr_sa_sdst(0)
	s_cmp_lt_i32 s42, 1
	.loc	1 45 20                         ; attention_fwd.py:45:20
	v_add_nc_u32_e32 v84, 0, v4
	v_or_b32_e32 v4, v7, v6
	s_delay_alu instid0(VALU_DEP_1)
	v_xor_b32_e32 v133, v4, v5
	s_barrier_wait -1
	global_inv scope:SCOPE_SE
	ds_store_b16 v84, v40
	ds_store_b16 v84, v39 offset:512
	ds_store_b16 v84, v9 offset:1024
	;; [unrolled: 1-line block ×31, first 2 shown]
	.loc	1 31 32                         ; attention_fwd.py:31:32
	s_cbranch_scc1 .LBB0_388
; %bb.257:                              ; %.lr.ph
                                        ; implicit-def: $vgpr251 : SGPR spill to VGPR lane
	s_or_b32 s0, s40, 0x7e
	v_writelane_b32 v251, s46, 0
	s_wait_alu depctr_sa_sdst(0)
	s_mul_i32 s1, s43, s0
	s_mul_i32 s0, s45, s0
                                        ; implicit-def: $vgpr250 : SGPR spill to VGPR lane
	v_add_co_u32 v85, vcc_lo, s2, v0
	v_writelane_b32 v251, s47, 1
	s_wait_alu depctr_va_vcc(0)
	v_add_co_ci_u32_e64 v86, null, s3, v1, vcc_lo
	v_add_co_u32 v87, vcc_lo, s4, v2
	v_writelane_b32 v251, s44, 2
	s_wait_alu depctr_va_vcc(0)
	v_add_co_ci_u32_e64 v88, null, s5, v3, vcc_lo
	v_xor_b32_e32 v1, 32, v133
	v_xor_b32_e32 v2, 64, v133
	s_wait_alu depctr_sa_sdst(0)
	v_writelane_b32 v251, s1, 3
	v_xor_b32_e32 v3, 0x60, v133
	v_xor_b32_e32 v4, 0x80, v133
	;; [unrolled: 1-line block ×4, first 2 shown]
	v_writelane_b32 v251, s0, 4
	s_or_b32 s0, s40, 0x7c
	v_xor_b32_e32 v7, 0xe0, v133
	s_wait_alu depctr_sa_sdst(0)
	s_mul_i32 s1, s43, s0
	s_mul_i32 s0, s45, s0
	s_wait_alu depctr_sa_sdst(0)
	v_writelane_b32 v251, s1, 5
	s_or_b32 s1, s40, 0x7a
	v_dual_mov_b32 v0, 0 :: v_dual_add_nc_u32 v93, 0, v4
	v_lshl_add_u32 v89, v129, 1, v130
	v_writelane_b32 v251, s0, 6
	s_wait_alu depctr_sa_sdst(0)
	s_mul_i32 s0, s43, s1
	s_mul_i32 s1, s45, s1
	v_dual_mov_b32 v68, 0xff800000 :: v_dual_add_nc_u32 v91, 0, v2
	s_wait_alu depctr_sa_sdst(0)
	v_writelane_b32 v251, s0, 7
	s_or_b32 s0, s40, 0x78
	v_dual_mov_b32 v1, v0 :: v_dual_add_nc_u32 v90, 0, v1
	v_dual_mov_b32 v3, v0 :: v_dual_add_nc_u32 v92, 0, v3
	v_writelane_b32 v251, s1, 8
	s_wait_alu depctr_sa_sdst(0)
	s_mul_i32 s1, s43, s0
	s_mul_i32 s0, s45, s0
	v_dual_mov_b32 v5, v0 :: v_dual_add_nc_u32 v94, 0, v5
	s_wait_alu depctr_sa_sdst(0)
	v_writelane_b32 v251, s1, 9
	s_or_b32 s1, s40, 0x76
	v_dual_mov_b32 v2, v0 :: v_dual_add_nc_u32 v95, 0, v6
	v_dual_mov_b32 v7, v0 :: v_dual_add_nc_u32 v134, 0, v7
	v_writelane_b32 v251, s0, 10
	s_wait_alu depctr_sa_sdst(0)
	s_mul_i32 s0, s43, s1
	s_mul_i32 s1, s45, s1
	v_dual_mov_b32 v4, v0 :: v_dual_mov_b32 v9, v0
	s_wait_alu depctr_sa_sdst(0)
	v_writelane_b32 v251, s0, 11
	s_or_b32 s0, s40, 0x74
	v_dual_mov_b32 v6, v0 :: v_dual_mov_b32 v11, v0
	v_dual_mov_b32 v8, v0 :: v_dual_mov_b32 v13, v0
	v_writelane_b32 v251, s1, 12
	s_wait_alu depctr_sa_sdst(0)
	s_mul_i32 s1, s43, s0
	s_mul_i32 s0, s45, s0
	v_dual_mov_b32 v10, v0 :: v_dual_mov_b32 v15, v0
	s_wait_alu depctr_sa_sdst(0)
	v_writelane_b32 v251, s1, 13
	s_or_b32 s1, s40, 0x72
	v_dual_mov_b32 v12, v0 :: v_dual_mov_b32 v17, v0
	v_dual_mov_b32 v14, v0 :: v_dual_mov_b32 v19, v0
	;; [unrolled: 10-line block ×9, first 2 shown]
	v_writelane_b32 v251, s1, 28
	s_wait_alu depctr_sa_sdst(0)
	s_mul_i32 s1, s43, s0
	s_mul_i32 s0, s45, s0
	v_dual_mov_b32 v58, v0 :: v_dual_mov_b32 v63, v0
	s_wait_alu depctr_sa_sdst(0)
	v_writelane_b32 v251, s1, 29
	s_or_b32 s1, s40, 0x62
	v_dual_mov_b32 v60, v0 :: v_dual_mov_b32 v135, v0
	v_mov_b32_e32 v62, v0
	v_writelane_b32 v251, s0, 30
	s_wait_alu depctr_sa_sdst(0)
	s_mul_i32 s0, s43, s1
	s_mul_i32 s1, s45, s1
	s_lshl_b32 s44, s43, 6
	s_wait_alu depctr_sa_sdst(0)
	v_writelane_b32 v250, s1, 0
	v_writelane_b32 v251, s0, 31
	s_or_b32 s0, s40, 0x60
	s_lshl_b32 s46, s45, 6
	s_wait_alu depctr_sa_sdst(0)
	s_mul_i32 s1, s43, s0
	s_mul_i32 s0, s45, s0
	s_wait_alu depctr_sa_sdst(0)
	v_writelane_b32 v250, s1, 1
	s_or_b32 s1, s40, 0x5e
	s_mov_b32 s47, 0
	v_writelane_b32 v250, s0, 2
	s_wait_alu depctr_sa_sdst(0)
	s_mul_i32 s0, s43, s1
	s_mul_i32 s1, s45, s1
	s_wait_alu depctr_sa_sdst(0)
	v_writelane_b32 v250, s0, 3
	s_or_b32 s0, s40, 0x5c
	s_wait_alu depctr_sa_sdst(0)
	s_mul_i32 s80, s45, s0
	v_writelane_b32 v250, s1, 4
	s_mul_i32 s1, s43, s0
	s_or_b32 s0, s40, 0x58
	s_wait_alu depctr_sa_sdst(0)
	s_mul_i32 s83, s43, s0
	v_writelane_b32 v250, s1, 5
	s_or_b32 s1, s40, 0x5a
	s_mul_i32 s84, s45, s0
	s_wait_alu depctr_sa_sdst(0)
	s_mul_i32 s81, s43, s1
	s_mul_i32 s82, s45, s1
	s_or_b32 s1, s40, 0x56
	s_or_b32 s0, s40, 0x54
	s_wait_alu depctr_sa_sdst(0)
	s_mul_i32 s85, s43, s1
	s_mul_i32 s86, s45, s1
	s_mul_i32 s87, s43, s0
	s_or_b32 s1, s40, 0x52
	s_mul_i32 s88, s45, s0
	s_or_b32 s0, s40, 0x50
	s_wait_alu depctr_sa_sdst(0)
	s_mul_i32 s89, s43, s1
	s_mul_i32 s90, s45, s1
	s_mul_i32 s91, s43, s0
	s_or_b32 s1, s40, 0x4e
	s_mul_i32 s92, s45, s0
	;; [unrolled: 7-line block ×5, first 2 shown]
	s_or_b32 s0, s40, 64
	s_wait_alu depctr_sa_sdst(0)
	s_mul_i32 vcc_hi, s43, s1
	s_mul_i32 s39, s45, s1
	s_mul_i32 s43, s43, s0
	;; [unrolled: 1-line block ×3, first 2 shown]
	s_mov_b32 s0, 0x76543210
	s_mov_b32 s45, 0
	s_branch .LBB0_259
.LBB0_258:                              ;   in Loop: Header=BB0_259 Depth=1
	.loc	1 46 37                         ; attention_fwd.py:46:37
	v_bfe_u32 v73, v72, 16, 1
	v_cmp_o_f32_e32 vcc_lo, v72, v72
	v_cmp_o_f32_e64 s2, v66, v66
	v_cmp_o_f32_e64 s3, v67, v67
	;; [unrolled: 1-line block ×3, first 2 shown]
	v_add3_u32 v73, v72, v73, 0x7fff
	v_bfe_u32 v72, v66, 16, 1
.Ltmp1:
	.file	2 "/root/.local/lib/python3.13/site-packages/triton/language" "standard.py"
	.loc	2 263 15                        ; standard.py:263:15 @[ standard.py:293:36 @[ attention_fwd.py:42:38 ] ]
	v_add_f32_e32 v131, v131, v169
.Ltmp2:
	.loc	1 31 32                         ; attention_fwd.py:31:32
	s_add_co_i32 s47, s47, 64
	s_add_co_i32 s45, s45, s44
	.loc	1 46 37                         ; attention_fwd.py:46:37
	v_lshrrev_b32_e32 v73, 16, v73
	v_add3_u32 v72, v66, v72, 0x7fff
	v_bfe_u32 v66, v67, 16, 1
	.loc	1 31 32                         ; attention_fwd.py:31:32
	s_add_co_i32 s41, s41, s46
	s_wait_alu depctr_sa_sdst(0)
	s_cmp_lt_i32 s47, s42
	.loc	1 41 29                         ; attention_fwd.py:41:29
	v_sub_f32_e32 v68, v68, v132
	.loc	1 46 37                         ; attention_fwd.py:46:37
	v_lshrrev_b32_e32 v72, 16, v72
	v_add3_u32 v66, v67, v66, 0x7fff
	v_bfe_u32 v67, v71, 16, 1
	v_mov_b32_e32 v169, v145
	s_delay_alu instid0(VALU_DEP_4) | instskip(SKIP_1) | instid1(VALU_DEP_4)
	v_cndmask_b32_e64 v72, 0x7fff, v72, s2
	v_cmp_o_f32_e64 s2, v65, v65
	v_add3_u32 v67, v71, v67, 0x7fff
	s_wait_alu depctr_va_vcc(0)
	v_cndmask_b32_e32 v71, 0x7fff, v73, vcc_lo
	v_cmp_o_f32_e32 vcc_lo, v70, v70
	v_lshrrev_b32_e32 v66, 16, v66
	v_lshrrev_b32_e32 v67, 16, v67
	s_delay_alu instid0(VALU_DEP_2) | instskip(SKIP_1) | instid1(VALU_DEP_3)
	v_cndmask_b32_e64 v66, 0x7fff, v66, s3
	v_cmp_o_f32_e64 s3, v212, v212
	v_cndmask_b32_e64 v67, 0x7fff, v67, s4
	v_cmp_o_f32_e64 s4, v214, v214
	s_delay_alu instid0(VALU_DEP_4) | instskip(NEXT) | instid1(VALU_DEP_3)
	v_perm_b32 v66, v66, v72, 0x5040100
	v_perm_b32 v67, v71, v67, 0x5040100
	v_bfe_u32 v71, v70, 16, 1
	s_delay_alu instid0(VALU_DEP_1) | instskip(SKIP_1) | instid1(VALU_DEP_2)
	v_add3_u32 v71, v70, v71, 0x7fff
	v_bfe_u32 v70, v65, 16, 1
	v_lshrrev_b32_e32 v71, 16, v71
	s_delay_alu instid0(VALU_DEP_2) | instskip(NEXT) | instid1(VALU_DEP_1)
	v_add3_u32 v70, v65, v70, 0x7fff
	v_lshrrev_b32_e32 v70, 16, v70
	s_wait_alu depctr_va_sdst(0)
	s_delay_alu instid0(VALU_DEP_1) | instskip(SKIP_4) | instid1(VALU_DEP_3)
	v_cndmask_b32_e64 v65, 0x7fff, v70, s2
	s_wait_alu depctr_va_vcc(0)
	v_cndmask_b32_e32 v70, 0x7fff, v71, vcc_lo
	v_cmp_o_f32_e32 vcc_lo, v69, v69
	v_cmp_o_f32_e64 s2, v64, v64
	v_perm_b32 v65, v70, v65, 0x5040100
	v_bfe_u32 v70, v69, 16, 1
	s_delay_alu instid0(VALU_DEP_1) | instskip(SKIP_1) | instid1(VALU_DEP_2)
	v_add3_u32 v70, v69, v70, 0x7fff
	v_bfe_u32 v69, v64, 16, 1
	v_lshrrev_b32_e32 v70, 16, v70
	s_delay_alu instid0(VALU_DEP_2) | instskip(NEXT) | instid1(VALU_DEP_1)
	v_add3_u32 v69, v64, v69, 0x7fff
	v_lshrrev_b32_e32 v69, 16, v69
	s_wait_alu depctr_va_sdst(0)
	s_delay_alu instid0(VALU_DEP_1)
	v_cndmask_b32_e64 v64, 0x7fff, v69, s2
	s_wait_alu depctr_va_vcc(0)
	v_cndmask_b32_e32 v69, 0x7fff, v70, vcc_lo
	.loc	1 45 20                         ; attention_fwd.py:45:20
	ds_load_u16 v70, v89 offset:1024
	ds_load_u16 v71, v89 offset:1536
	;; [unrolled: 1-line block ×9, first 2 shown]
	s_wait_dscnt 0x8
	ds_load_u16_d16_hi v70, v89 offset:1280
	ds_load_u16 v75, v89 offset:1568
	ds_load_u16 v229, v89 offset:1600
	;; [unrolled: 1-line block ×7, first 2 shown]
	s_wait_dscnt 0xf
	ds_load_u16_d16_hi v71, v89 offset:1792
	.loc	1 46 37                         ; attention_fwd.py:46:37
	v_perm_b32 v64, v69, v64, 0x5040100
	.loc	1 41 23                         ; attention_fwd.py:41:23
	v_mul_f32_e32 v69, 0x3fb8aa3b, v68
	.loc	1 46 37                         ; attention_fwd.py:46:37
	v_cmp_o_f32_e64 s2, v213, v213
	s_delay_alu instid0(VALU_DEP_2) | instskip(SKIP_2) | instid1(VALU_DEP_1)
	.loc	1 41 23                         ; attention_fwd.py:41:23
	v_cmp_gt_f32_e32 vcc_lo, 0xc2fc0000, v69
	s_wait_alu depctr_va_vcc(0)
	v_cndmask_b32_e64 v69, 0, 0x42800000, vcc_lo
	v_fmac_f32_e32 v69, 0x3fb8aa3b, v68
	s_delay_alu instid0(VALU_DEP_1)
	v_exp_f32_e32 v68, v69
	v_cndmask_b32_e64 v69, 0, 0xffffffc0, vcc_lo
	.loc	1 46 37                         ; attention_fwd.py:46:37
	v_cmp_o_f32_e32 vcc_lo, v221, v221
	s_delay_alu instid0(TRANS32_DEP_1) | instid1(VALU_DEP_2)
	.loc	1 41 23                         ; attention_fwd.py:41:23
	v_ldexp_f32 v225, v68, v69
	.loc	1 45 20                         ; attention_fwd.py:45:20
	ds_load_u16 v68, v89
	ds_load_u16 v72, v89 offset:32
	ds_load_u16 v226, v89 offset:64
	;; [unrolled: 1-line block ×15, first 2 shown]
	s_wait_dscnt 0xf
	ds_load_u16_d16_hi v68, v89 offset:256
	s_wait_dscnt 0xf
	ds_load_u16_d16_hi v72, v89 offset:288
	s_wait_dscnt 0xf
	ds_load_u16_d16_hi v226, v89 offset:320
	s_wait_dscnt 0xf
	ds_load_u16_d16_hi v230, v89 offset:352
	s_wait_dscnt 0xf
	ds_load_u16_d16_hi v234, v89 offset:384
	s_wait_dscnt 0xf
	ds_load_u16_d16_hi v238, v89 offset:416
	s_wait_dscnt 0xf
	ds_load_u16_d16_hi v242, v89 offset:448
	s_wait_dscnt 0xf
	ds_load_u16_d16_hi v246, v89 offset:480
	s_wait_dscnt 0xf
	ds_load_u16_d16_hi v69, v89 offset:768
	s_wait_dscnt 0xf
	ds_load_u16_d16_hi v73, v89 offset:800
	s_wait_dscnt 0xf
	ds_load_u16_d16_hi v227, v89 offset:832
	s_wait_dscnt 0xf
	ds_load_u16_d16_hi v231, v89 offset:864
	s_wait_dscnt 0xf
	ds_load_u16_d16_hi v235, v89 offset:896
	s_wait_dscnt 0xf
	ds_load_u16_d16_hi v239, v89 offset:928
	s_wait_dscnt 0xf
	ds_load_u16_d16_hi v243, v89 offset:960
	s_wait_dscnt 0xf
	ds_load_u16_d16_hi v247, v89 offset:992
	ds_load_u16_d16_hi v74, v89 offset:1312
	ds_load_u16_d16_hi v228, v89 offset:1344
	;; [unrolled: 1-line block ×14, first 2 shown]
	.loc	1 43 20                         ; attention_fwd.py:43:20
	v_mul_f32_e32 v0, v0, v225
	v_mul_f32_e32 v1, v1, v225
	;; [unrolled: 1-line block ×63, first 2 shown]
	.loc	1 42 28                         ; attention_fwd.py:42:28
	v_fmac_f32_e32 v131, v135, v225
	.loc	1 43 20                         ; attention_fwd.py:43:20
	v_mul_f32_e32 v40, v40, v225
	.loc	1 46 37                         ; attention_fwd.py:46:37
	s_wait_dscnt 0x15
	v_wmma_f32_16x16x16_bf16 v[0:7], v[68:71], v[64:67], v[0:7]
	s_wait_dscnt 0x6
	v_wmma_f32_16x16x16_bf16 v[8:15], v[72:75], v[64:67], v[8:15]
	;; [unrolled: 2-line block ×7, first 2 shown]
	v_mov_b32_e32 v135, v131
	v_wmma_f32_16x16x16_bf16 v[40:47], v[238:241], v[64:67], v[40:47]
	v_bfe_u32 v64, v221, 16, 1
	v_bfe_u32 v65, v213, 16, 1
	;; [unrolled: 1-line block ×5, first 2 shown]
	v_add3_u32 v64, v221, v64, 0x7fff
	v_add3_u32 v65, v213, v65, 0x7fff
	;; [unrolled: 1-line block ×5, first 2 shown]
	v_lshrrev_b32_e32 v64, 16, v64
	v_lshrrev_b32_e32 v65, 16, v65
	v_lshrrev_b32_e32 v66, 16, v66
	v_lshrrev_b32_e32 v67, 16, v67
	v_lshrrev_b32_e32 v68, 16, v68
	s_wait_alu depctr_va_vcc(0)
	v_cndmask_b32_e32 v64, 0x7fff, v64, vcc_lo
	s_wait_alu depctr_va_sdst(0)
	v_cndmask_b32_e64 v65, 0x7fff, v65, s2
	v_cndmask_b32_e64 v66, 0x7fff, v66, s3
	;; [unrolled: 1-line block ×3, first 2 shown]
	v_cmp_o_f32_e32 vcc_lo, v209, v209
	v_cmp_o_f32_e64 s2, v206, v206
	v_cmp_o_f32_e64 s3, v191, v191
	v_perm_b32 v66, v66, v65, 0x5040100
	v_perm_b32 v67, v64, v67, 0x5040100
	v_bfe_u32 v64, v209, 16, 1
	v_bfe_u32 v65, v206, 16, 1
	v_cmp_o_f32_e64 s4, v192, v192
	s_delay_alu instid0(VALU_DEP_3) | instskip(NEXT) | instid1(VALU_DEP_3)
	v_add3_u32 v64, v209, v64, 0x7fff
	v_add3_u32 v65, v206, v65, 0x7fff
	s_delay_alu instid0(VALU_DEP_2) | instskip(NEXT) | instid1(VALU_DEP_2)
	v_lshrrev_b32_e32 v64, 16, v64
	v_lshrrev_b32_e32 v65, 16, v65
	s_wait_alu depctr_va_vcc(0)
	s_delay_alu instid0(VALU_DEP_2) | instskip(SKIP_1) | instid1(VALU_DEP_2)
	v_cndmask_b32_e32 v64, 0x7fff, v64, vcc_lo
	s_wait_alu depctr_va_sdst(0)
	v_cndmask_b32_e64 v65, 0x7fff, v65, s2
	v_cmp_o_f32_e32 vcc_lo, v203, v203
	v_cmp_o_f32_e64 s2, v200, v200
	s_delay_alu instid0(VALU_DEP_3) | instskip(SKIP_2) | instid1(VALU_DEP_3)
	v_perm_b32 v65, v64, v65, 0x5040100
	v_bfe_u32 v64, v203, 16, 1
	s_wait_alu depctr_va_sdst(0)
	v_cndmask_b32_e64 v68, 0x7fff, v68, s2
	v_cmp_o_f32_e64 s2, v190, v190
	s_delay_alu instid0(VALU_DEP_3) | instskip(NEXT) | instid1(VALU_DEP_1)
	v_add3_u32 v64, v203, v64, 0x7fff
	v_lshrrev_b32_e32 v64, 16, v64
	s_wait_alu depctr_va_vcc(0)
	s_delay_alu instid0(VALU_DEP_1) | instskip(SKIP_1) | instid1(VALU_DEP_2)
	v_cndmask_b32_e32 v64, 0x7fff, v64, vcc_lo
	v_cmp_o_f32_e32 vcc_lo, v195, v195
	v_perm_b32 v64, v64, v68, 0x5040100
	.loc	1 45 20                         ; attention_fwd.py:45:20
	ds_load_u16 v69, v89 offset:4608
	ds_load_u16 v68, v89 offset:4096
	;; [unrolled: 1-line block ×32, first 2 shown]
	s_wait_dscnt 0x1e
	ds_load_u16_d16_hi v68, v89 offset:4352
	s_wait_dscnt 0x1e
	ds_load_u16_d16_hi v72, v89 offset:4384
	;; [unrolled: 2-line block ×8, first 2 shown]
	ds_load_u16_d16_hi v69, v89 offset:4864
	ds_load_u16_d16_hi v73, v89 offset:4896
	;; [unrolled: 1-line block ×7, first 2 shown]
	s_wait_dscnt 0x1f
	ds_load_u16_d16_hi v247, v89 offset:5088
	s_wait_dscnt 0x1f
	ds_load_u16_d16_hi v70, v89 offset:5376
	;; [unrolled: 2-line block ×17, first 2 shown]
	.loc	1 46 37                         ; attention_fwd.py:46:37
	s_wait_dscnt 0x7
	v_wmma_f32_16x16x16_bf16 v[0:7], v[68:71], v[64:67], v[0:7]
	s_wait_dscnt 0x6
	v_wmma_f32_16x16x16_bf16 v[8:15], v[72:75], v[64:67], v[8:15]
	s_wait_dscnt 0x5
	v_wmma_f32_16x16x16_bf16 v[16:23], v[226:229], v[64:67], v[16:23]
	s_wait_dscnt 0x4
	v_wmma_f32_16x16x16_bf16 v[24:31], v[230:233], v[64:67], v[24:31]
	s_wait_dscnt 0x3
	v_wmma_f32_16x16x16_bf16 v[32:39], v[234:237], v[64:67], v[32:39]
	s_wait_dscnt 0x2
	v_wmma_f32_16x16x16_bf16 v[40:47], v[238:241], v[64:67], v[40:47]
	s_wait_dscnt 0x1
	v_wmma_f32_16x16x16_bf16 v[48:55], v[242:245], v[64:67], v[48:55]
	s_wait_dscnt 0x0
	v_wmma_f32_16x16x16_bf16 v[56:63], v[246:249], v[64:67], v[56:63]
	v_bfe_u32 v64, v195, 16, 1
	v_bfe_u32 v65, v190, 16, 1
	;; [unrolled: 1-line block ×5, first 2 shown]
	v_add3_u32 v64, v195, v64, 0x7fff
	v_add3_u32 v65, v190, v65, 0x7fff
	;; [unrolled: 1-line block ×5, first 2 shown]
	v_lshrrev_b32_e32 v64, 16, v64
	v_lshrrev_b32_e32 v65, 16, v65
	;; [unrolled: 1-line block ×5, first 2 shown]
	s_wait_alu depctr_va_vcc(0)
	v_cndmask_b32_e32 v64, 0x7fff, v64, vcc_lo
	s_wait_alu depctr_va_sdst(0)
	v_cndmask_b32_e64 v65, 0x7fff, v65, s2
	v_cndmask_b32_e64 v66, 0x7fff, v66, s3
	;; [unrolled: 1-line block ×3, first 2 shown]
	v_cmp_o_f32_e32 vcc_lo, v184, v184
	v_cmp_o_f32_e64 s2, v180, v180
	v_cmp_o_f32_e64 s3, v185, v185
	v_perm_b32 v66, v66, v65, 0x5040100
	v_perm_b32 v67, v64, v67, 0x5040100
	v_bfe_u32 v64, v184, 16, 1
	v_bfe_u32 v65, v180, 16, 1
	v_cmp_o_f32_e64 s4, v186, v186
	s_delay_alu instid0(VALU_DEP_3) | instskip(NEXT) | instid1(VALU_DEP_3)
	v_add3_u32 v64, v184, v64, 0x7fff
	v_add3_u32 v65, v180, v65, 0x7fff
	v_mov_b32_e32 v180, v160
	s_delay_alu instid0(VALU_DEP_3) | instskip(NEXT) | instid1(VALU_DEP_3)
	v_lshrrev_b32_e32 v64, 16, v64
	v_lshrrev_b32_e32 v65, 16, v65
	s_wait_alu depctr_va_vcc(0)
	s_delay_alu instid0(VALU_DEP_2) | instskip(SKIP_1) | instid1(VALU_DEP_2)
	v_cndmask_b32_e32 v64, 0x7fff, v64, vcc_lo
	s_wait_alu depctr_va_sdst(0)
	v_cndmask_b32_e64 v65, 0x7fff, v65, s2
	v_cmp_o_f32_e32 vcc_lo, v179, v179
	v_cmp_o_f32_e64 s2, v175, v175
	v_mov_b32_e32 v175, v151
	s_delay_alu instid0(VALU_DEP_4) | instskip(SKIP_4) | instid1(VALU_DEP_3)
	v_perm_b32 v65, v64, v65, 0x5040100
	v_bfe_u32 v64, v179, 16, 1
	s_wait_alu depctr_va_sdst(0)
	v_cndmask_b32_e64 v68, 0x7fff, v68, s2
	v_cmp_o_f32_e64 s2, v183, v183
	v_add3_u32 v64, v179, v64, 0x7fff
	v_mov_b32_e32 v179, v155
	s_delay_alu instid0(VALU_DEP_2) | instskip(SKIP_1) | instid1(VALU_DEP_1)
	v_lshrrev_b32_e32 v64, 16, v64
	s_wait_alu depctr_va_vcc(0)
	v_cndmask_b32_e32 v64, 0x7fff, v64, vcc_lo
	v_cmp_o_f32_e32 vcc_lo, v187, v187
	s_delay_alu instid0(VALU_DEP_2)
	v_perm_b32 v64, v64, v68, 0x5040100
	.loc	1 45 20                         ; attention_fwd.py:45:20
	ds_load_u16 v69, v89 offset:8704
	ds_load_u16 v68, v89 offset:8192
	;; [unrolled: 1-line block ×32, first 2 shown]
	s_wait_dscnt 0x1e
	ds_load_u16_d16_hi v68, v89 offset:8448
	s_wait_dscnt 0x1e
	ds_load_u16_d16_hi v72, v89 offset:8480
	;; [unrolled: 2-line block ×8, first 2 shown]
	ds_load_u16_d16_hi v69, v89 offset:8960
	ds_load_u16_d16_hi v73, v89 offset:8992
	;; [unrolled: 1-line block ×7, first 2 shown]
	s_wait_dscnt 0x1f
	ds_load_u16_d16_hi v247, v89 offset:9184
	s_wait_dscnt 0x1f
	ds_load_u16_d16_hi v70, v89 offset:9472
	;; [unrolled: 2-line block ×17, first 2 shown]
	.loc	1 46 37                         ; attention_fwd.py:46:37
	s_wait_dscnt 0x7
	v_wmma_f32_16x16x16_bf16 v[0:7], v[68:71], v[64:67], v[0:7]
	s_wait_dscnt 0x6
	v_wmma_f32_16x16x16_bf16 v[8:15], v[72:75], v[64:67], v[8:15]
	;; [unrolled: 2-line block ×8, first 2 shown]
	v_bfe_u32 v64, v187, 16, 1
	v_bfe_u32 v65, v183, 16, 1
	;; [unrolled: 1-line block ×5, first 2 shown]
	v_add3_u32 v64, v187, v64, 0x7fff
	v_add3_u32 v65, v183, v65, 0x7fff
	;; [unrolled: 1-line block ×5, first 2 shown]
	v_lshrrev_b32_e32 v64, 16, v64
	v_lshrrev_b32_e32 v65, 16, v65
	;; [unrolled: 1-line block ×5, first 2 shown]
	s_wait_alu depctr_va_vcc(0)
	v_cndmask_b32_e32 v64, 0x7fff, v64, vcc_lo
	s_wait_alu depctr_va_sdst(0)
	v_cndmask_b32_e64 v65, 0x7fff, v65, s2
	v_cndmask_b32_e64 v66, 0x7fff, v66, s3
	;; [unrolled: 1-line block ×3, first 2 shown]
	v_cmp_o_f32_e32 vcc_lo, v176, v176
	v_cmp_o_f32_e64 s2, v174, v174
	v_mov_b32_e32 v187, v163
	v_perm_b32 v66, v66, v65, 0x5040100
	v_perm_b32 v67, v64, v67, 0x5040100
	v_bfe_u32 v64, v176, 16, 1
	v_bfe_u32 v65, v174, 16, 1
	s_delay_alu instid0(VALU_DEP_2) | instskip(NEXT) | instid1(VALU_DEP_2)
	v_add3_u32 v64, v176, v64, 0x7fff
	v_add3_u32 v65, v174, v65, 0x7fff
	v_mov_b32_e32 v176, v156
	v_mov_b32_e32 v174, v154
	s_delay_alu instid0(VALU_DEP_4) | instskip(NEXT) | instid1(VALU_DEP_4)
	v_lshrrev_b32_e32 v64, 16, v64
	v_lshrrev_b32_e32 v65, 16, v65
	s_wait_alu depctr_va_vcc(0)
	s_delay_alu instid0(VALU_DEP_2) | instskip(SKIP_1) | instid1(VALU_DEP_2)
	v_cndmask_b32_e32 v64, 0x7fff, v64, vcc_lo
	s_wait_alu depctr_va_sdst(0)
	v_cndmask_b32_e64 v65, 0x7fff, v65, s2
	v_cmp_o_f32_e32 vcc_lo, v171, v171
	v_cmp_o_f32_e64 s2, v170, v170
	v_mov_b32_e32 v170, v150
	s_delay_alu instid0(VALU_DEP_4) | instskip(SKIP_3) | instid1(VALU_DEP_2)
	v_perm_b32 v65, v64, v65, 0x5040100
	v_bfe_u32 v64, v171, 16, 1
	s_wait_alu depctr_va_sdst(0)
	v_cndmask_b32_e64 v68, 0x7fff, v68, s2
	v_add3_u32 v64, v171, v64, 0x7fff
	v_mov_b32_e32 v171, v147
	s_delay_alu instid0(VALU_DEP_2) | instskip(SKIP_1) | instid1(VALU_DEP_1)
	v_lshrrev_b32_e32 v64, 16, v64
	s_wait_alu depctr_va_vcc(0)
	v_cndmask_b32_e32 v64, 0x7fff, v64, vcc_lo
	s_delay_alu instid0(VALU_DEP_1)
	v_perm_b32 v64, v64, v68, 0x5040100
	.loc	1 45 20                         ; attention_fwd.py:45:20
	ds_load_u16 v69, v89 offset:12800
	ds_load_u16 v68, v89 offset:12288
	;; [unrolled: 1-line block ×32, first 2 shown]
	s_wait_dscnt 0x1e
	ds_load_u16_d16_hi v68, v89 offset:12544
	s_wait_dscnt 0x1e
	ds_load_u16_d16_hi v72, v89 offset:12576
	;; [unrolled: 2-line block ×8, first 2 shown]
	ds_load_u16_d16_hi v69, v89 offset:13056
	ds_load_u16_d16_hi v73, v89 offset:13088
	;; [unrolled: 1-line block ×7, first 2 shown]
	s_wait_dscnt 0x1f
	ds_load_u16_d16_hi v243, v89 offset:13280
	s_wait_dscnt 0x1f
	ds_load_u16_d16_hi v70, v89 offset:13568
	;; [unrolled: 2-line block ×17, first 2 shown]
	.loc	1 46 37                         ; attention_fwd.py:46:37
	s_wait_dscnt 0x7
	v_wmma_f32_16x16x16_bf16 v[0:7], v[68:71], v[64:67], v[0:7]
	s_wait_dscnt 0x6
	v_wmma_f32_16x16x16_bf16 v[8:15], v[72:75], v[64:67], v[8:15]
	;; [unrolled: 2-line block ×8, first 2 shown]
	v_mov_b32_e32 v186, v166
	v_dual_mov_b32 v184, v164 :: v_dual_mov_b32 v185, v161
	v_mov_b32_e32 v183, v159
	v_mov_b32_e32 v75, v148
	v_dual_mov_b32 v73, v146 :: v_dual_mov_b32 v74, v143
	v_dual_mov_b32 v71, v144 :: v_dual_mov_b32 v72, v141
	;; [unrolled: 1-line block ×5, first 2 shown]
	v_mov_b32_e32 v68, v132
	.loc	1 45 20                         ; attention_fwd.py:45:20
	s_wait_loadcnt 0x0
	s_barrier_signal -1
	s_barrier_wait -1
	global_inv scope:SCOPE_SE
	ds_store_b16 v84, v168
	ds_store_b16 v84, v173 offset:512
	ds_store_b16 v84, v172 offset:1024
	;; [unrolled: 1-line block ×31, first 2 shown]
	v_dual_mov_b32 v188, v167 :: v_dual_mov_b32 v189, v165
	v_dual_mov_b32 v182, v162 :: v_dual_mov_b32 v181, v157
	;; [unrolled: 1-line block ×4, first 2 shown]
	.loc	1 31 32                         ; attention_fwd.py:31:32
	s_cbranch_scc0 .LBB0_387
.LBB0_259:                              ; =>This Inner Loop Header: Depth=1
	.loc	1 32 27                         ; attention_fwd.py:32:27
	s_add_co_i32 s2, s40, s47
	v_mov_b32_e32 v136, 0
	s_wait_alu depctr_sa_sdst(0)
	s_add_co_i32 s3, s2, 64
	.loc	1 34 51                         ; attention_fwd.py:34:51
	s_wait_alu depctr_sa_sdst(0)
	s_cmp_lt_i32 s3, s34
	s_cselect_b32 s49, -1, 0
	s_cmp_ge_i32 s3, s34
	.loc	1 34 20 is_stmt 0               ; attention_fwd.py:34:20
	s_cbranch_scc1 .LBB0_261
; %bb.260:                              ;   in Loop: Header=BB0_259 Depth=1
	.loc	1 0 20                          ; attention_fwd.py:0:20
	s_add_co_i32 s4, s1, s41
	s_wait_alu depctr_sa_sdst(0)
	s_ashr_i32 s5, s4, 31
	s_wait_alu depctr_sa_sdst(0)
	s_lshl_b64 s[4:5], s[4:5], 1
	s_wait_alu depctr_sa_sdst(0)
	v_add_co_u32 v131, vcc_lo, v85, s4
	s_wait_alu depctr_va_vcc(0)
	v_add_co_ci_u32_e64 v132, null, s5, v86, vcc_lo
	.loc	1 34 20                         ; attention_fwd.py:34:20
	global_load_u16 v136, v[131:132], off
.LBB0_261:                              ;   in Loop: Header=BB0_259 Depth=1
	.loc	1 32 27 is_stmt 1               ; attention_fwd.py:32:27
	s_add_co_i32 s3, s2, 0x42
	v_dual_mov_b32 v137, 0 :: v_dual_mov_b32 v138, 0
	.loc	1 34 51                         ; attention_fwd.py:34:51
	s_wait_alu depctr_sa_sdst(0)
	s_cmp_lt_i32 s3, s34
	s_cselect_b32 s48, -1, 0
	s_cmp_ge_i32 s3, s34
	.loc	1 34 20 is_stmt 0               ; attention_fwd.py:34:20
	s_cbranch_scc1 .LBB0_263
; %bb.262:                              ;   in Loop: Header=BB0_259 Depth=1
	.loc	1 33 39 is_stmt 1               ; attention_fwd.py:33:39
	s_add_co_i32 s4, s39, s41
	.loc	1 33 21 is_stmt 0               ; attention_fwd.py:33:21
	s_wait_alu depctr_sa_sdst(0)
	s_ashr_i32 s5, s4, 31
	.loc	1 33 51                         ; attention_fwd.py:33:51
	s_wait_alu depctr_sa_sdst(0)
	s_lshl_b64 s[4:5], s[4:5], 1
	s_wait_alu depctr_sa_sdst(0)
	v_add_co_u32 v131, vcc_lo, v85, s4
	s_wait_alu depctr_va_vcc(0)
	v_add_co_ci_u32_e64 v132, null, s5, v86, vcc_lo
	.loc	1 34 20 is_stmt 1               ; attention_fwd.py:34:20
	global_load_u16 v138, v[131:132], off
.LBB0_263:                              ;   in Loop: Header=BB0_259 Depth=1
	.loc	1 32 27                         ; attention_fwd.py:32:27
	s_add_co_i32 s3, s2, 0x44
	.loc	1 34 51                         ; attention_fwd.py:34:51
	s_wait_alu depctr_sa_sdst(0)
	s_cmp_lt_i32 s3, s34
	s_cselect_b32 s50, -1, 0
	s_cmp_ge_i32 s3, s34
	.loc	1 34 20 is_stmt 0               ; attention_fwd.py:34:20
	s_cbranch_scc1 .LBB0_265
; %bb.264:                              ;   in Loop: Header=BB0_259 Depth=1
	.loc	1 33 39 is_stmt 1               ; attention_fwd.py:33:39
	s_add_co_i32 s4, s104, s41
	.loc	1 33 21 is_stmt 0               ; attention_fwd.py:33:21
	s_wait_alu depctr_sa_sdst(0)
	s_ashr_i32 s5, s4, 31
	.loc	1 33 51                         ; attention_fwd.py:33:51
	s_wait_alu depctr_sa_sdst(0)
	s_lshl_b64 s[4:5], s[4:5], 1
	s_wait_alu depctr_sa_sdst(0)
	v_add_co_u32 v131, vcc_lo, v85, s4
	s_wait_alu depctr_va_vcc(0)
	v_add_co_ci_u32_e64 v132, null, s5, v86, vcc_lo
	.loc	1 34 20 is_stmt 1               ; attention_fwd.py:34:20
	global_load_u16 v137, v[131:132], off
.LBB0_265:                              ;   in Loop: Header=BB0_259 Depth=1
	.loc	1 32 27                         ; attention_fwd.py:32:27
	s_add_co_i32 s3, s2, 0x46
	v_dual_mov_b32 v139, 0 :: v_dual_mov_b32 v140, 0
	.loc	1 34 51                         ; attention_fwd.py:34:51
	s_wait_alu depctr_sa_sdst(0)
	s_cmp_lt_i32 s3, s34
	s_cselect_b32 s51, -1, 0
	s_cmp_ge_i32 s3, s34
	.loc	1 34 20 is_stmt 0               ; attention_fwd.py:34:20
	s_cbranch_scc1 .LBB0_267
; %bb.266:                              ;   in Loop: Header=BB0_259 Depth=1
	.loc	1 33 39 is_stmt 1               ; attention_fwd.py:33:39
	s_add_co_i32 s4, s102, s41
	.loc	1 33 21 is_stmt 0               ; attention_fwd.py:33:21
	s_wait_alu depctr_sa_sdst(0)
	s_ashr_i32 s5, s4, 31
	.loc	1 33 51                         ; attention_fwd.py:33:51
	s_wait_alu depctr_sa_sdst(0)
	s_lshl_b64 s[4:5], s[4:5], 1
	s_wait_alu depctr_sa_sdst(0)
	v_add_co_u32 v131, vcc_lo, v85, s4
	s_wait_alu depctr_va_vcc(0)
	v_add_co_ci_u32_e64 v132, null, s5, v86, vcc_lo
	.loc	1 34 20 is_stmt 1               ; attention_fwd.py:34:20
	global_load_u16 v140, v[131:132], off
.LBB0_267:                              ;   in Loop: Header=BB0_259 Depth=1
	.loc	1 32 27                         ; attention_fwd.py:32:27
	s_add_co_i32 s3, s2, 0x48
	.loc	1 34 51                         ; attention_fwd.py:34:51
	s_wait_alu depctr_sa_sdst(0)
	s_cmp_lt_i32 s3, s34
	s_cselect_b32 s52, -1, 0
	s_cmp_ge_i32 s3, s34
	.loc	1 34 20 is_stmt 0               ; attention_fwd.py:34:20
	s_cbranch_scc1 .LBB0_269
; %bb.268:                              ;   in Loop: Header=BB0_259 Depth=1
	.loc	1 33 39 is_stmt 1               ; attention_fwd.py:33:39
	s_add_co_i32 s4, s100, s41
	.loc	1 33 21 is_stmt 0               ; attention_fwd.py:33:21
	s_wait_alu depctr_sa_sdst(0)
	s_ashr_i32 s5, s4, 31
	.loc	1 33 51                         ; attention_fwd.py:33:51
	s_wait_alu depctr_sa_sdst(0)
	s_lshl_b64 s[4:5], s[4:5], 1
	s_wait_alu depctr_sa_sdst(0)
	v_add_co_u32 v131, vcc_lo, v85, s4
	s_wait_alu depctr_va_vcc(0)
	v_add_co_ci_u32_e64 v132, null, s5, v86, vcc_lo
	.loc	1 34 20 is_stmt 1               ; attention_fwd.py:34:20
	global_load_u16 v139, v[131:132], off
.LBB0_269:                              ;   in Loop: Header=BB0_259 Depth=1
	.loc	1 32 27                         ; attention_fwd.py:32:27
	;; [unrolled: 51-line block ×7, first 2 shown]
	s_add_co_i32 s3, s2, 0x5e
	v_dual_mov_b32 v151, 0 :: v_dual_mov_b32 v152, 0
	.loc	1 34 51                         ; attention_fwd.py:34:51
	s_wait_alu depctr_sa_sdst(0)
	s_cmp_lt_i32 s3, s34
	s_cselect_b32 s63, -1, 0
	s_cmp_ge_i32 s3, s34
	.loc	1 34 20 is_stmt 0               ; attention_fwd.py:34:20
	s_cbranch_scc1 .LBB0_291
; %bb.290:                              ;   in Loop: Header=BB0_259 Depth=1
	.loc	1 33 39 is_stmt 1               ; attention_fwd.py:33:39
	v_readlane_b32 s3, v250, 4
	s_add_co_i32 s4, s3, s41
	.loc	1 33 21 is_stmt 0               ; attention_fwd.py:33:21
	s_wait_alu depctr_sa_sdst(0)
	s_ashr_i32 s5, s4, 31
	.loc	1 33 51                         ; attention_fwd.py:33:51
	s_wait_alu depctr_sa_sdst(0)
	s_lshl_b64 s[4:5], s[4:5], 1
	s_wait_alu depctr_sa_sdst(0)
	v_add_co_u32 v131, vcc_lo, v85, s4
	s_wait_alu depctr_va_vcc(0)
	v_add_co_ci_u32_e64 v132, null, s5, v86, vcc_lo
	.loc	1 34 20 is_stmt 1               ; attention_fwd.py:34:20
	global_load_u16 v152, v[131:132], off
.LBB0_291:                              ;   in Loop: Header=BB0_259 Depth=1
	.loc	1 32 27                         ; attention_fwd.py:32:27
	s_add_co_i32 s3, s2, 0x60
	.loc	1 34 51                         ; attention_fwd.py:34:51
	s_wait_alu depctr_sa_sdst(0)
	s_cmp_lt_i32 s3, s34
	s_cselect_b32 s64, -1, 0
	s_cmp_ge_i32 s3, s34
	.loc	1 34 20 is_stmt 0               ; attention_fwd.py:34:20
	s_cbranch_scc1 .LBB0_293
; %bb.292:                              ;   in Loop: Header=BB0_259 Depth=1
	.loc	1 33 39 is_stmt 1               ; attention_fwd.py:33:39
	v_readlane_b32 s3, v250, 2
	s_add_co_i32 s4, s3, s41
	.loc	1 33 21 is_stmt 0               ; attention_fwd.py:33:21
	s_wait_alu depctr_sa_sdst(0)
	s_ashr_i32 s5, s4, 31
	.loc	1 33 51                         ; attention_fwd.py:33:51
	s_wait_alu depctr_sa_sdst(0)
	s_lshl_b64 s[4:5], s[4:5], 1
	s_wait_alu depctr_sa_sdst(0)
	v_add_co_u32 v131, vcc_lo, v85, s4
	s_wait_alu depctr_va_vcc(0)
	v_add_co_ci_u32_e64 v132, null, s5, v86, vcc_lo
	.loc	1 34 20 is_stmt 1               ; attention_fwd.py:34:20
	global_load_u16 v151, v[131:132], off
.LBB0_293:                              ;   in Loop: Header=BB0_259 Depth=1
	.loc	1 32 27                         ; attention_fwd.py:32:27
	s_add_co_i32 s3, s2, 0x62
	v_dual_mov_b32 v153, 0 :: v_dual_mov_b32 v154, 0
	.loc	1 34 51                         ; attention_fwd.py:34:51
	s_wait_alu depctr_sa_sdst(0)
	s_cmp_lt_i32 s3, s34
	s_cselect_b32 s65, -1, 0
	s_cmp_ge_i32 s3, s34
	.loc	1 34 20 is_stmt 0               ; attention_fwd.py:34:20
	s_cbranch_scc1 .LBB0_295
; %bb.294:                              ;   in Loop: Header=BB0_259 Depth=1
	.loc	1 33 39 is_stmt 1               ; attention_fwd.py:33:39
	v_readlane_b32 s3, v250, 0
	s_add_co_i32 s4, s3, s41
	.loc	1 33 21 is_stmt 0               ; attention_fwd.py:33:21
	s_wait_alu depctr_sa_sdst(0)
	s_ashr_i32 s5, s4, 31
	.loc	1 33 51                         ; attention_fwd.py:33:51
	s_wait_alu depctr_sa_sdst(0)
	s_lshl_b64 s[4:5], s[4:5], 1
	s_wait_alu depctr_sa_sdst(0)
	v_add_co_u32 v131, vcc_lo, v85, s4
	s_wait_alu depctr_va_vcc(0)
	v_add_co_ci_u32_e64 v132, null, s5, v86, vcc_lo
	.loc	1 34 20 is_stmt 1               ; attention_fwd.py:34:20
	global_load_u16 v154, v[131:132], off
.LBB0_295:                              ;   in Loop: Header=BB0_259 Depth=1
	.loc	1 32 27                         ; attention_fwd.py:32:27
	s_add_co_i32 s3, s2, 0x64
	.loc	1 34 51                         ; attention_fwd.py:34:51
	s_wait_alu depctr_sa_sdst(0)
	s_cmp_lt_i32 s3, s34
	s_cselect_b32 s66, -1, 0
	s_cmp_ge_i32 s3, s34
	.loc	1 34 20 is_stmt 0               ; attention_fwd.py:34:20
	s_cbranch_scc1 .LBB0_297
; %bb.296:                              ;   in Loop: Header=BB0_259 Depth=1
	.loc	1 33 39 is_stmt 1               ; attention_fwd.py:33:39
	v_readlane_b32 s3, v251, 30
	s_add_co_i32 s4, s3, s41
	.loc	1 33 21 is_stmt 0               ; attention_fwd.py:33:21
	s_wait_alu depctr_sa_sdst(0)
	s_ashr_i32 s5, s4, 31
	.loc	1 33 51                         ; attention_fwd.py:33:51
	s_wait_alu depctr_sa_sdst(0)
	s_lshl_b64 s[4:5], s[4:5], 1
	s_wait_alu depctr_sa_sdst(0)
	v_add_co_u32 v131, vcc_lo, v85, s4
	s_wait_alu depctr_va_vcc(0)
	v_add_co_ci_u32_e64 v132, null, s5, v86, vcc_lo
	.loc	1 34 20 is_stmt 1               ; attention_fwd.py:34:20
	global_load_u16 v153, v[131:132], off
.LBB0_297:                              ;   in Loop: Header=BB0_259 Depth=1
	.loc	1 32 27                         ; attention_fwd.py:32:27
	;; [unrolled: 53-line block ×8, first 2 shown]
	s_addk_co_i32 s2, 0x7e
	v_dual_mov_b32 v168, 0 :: v_dual_mov_b32 v167, 0
	.loc	1 34 51                         ; attention_fwd.py:34:51
	s_wait_alu depctr_sa_sdst(0)
	s_cmp_lt_i32 s2, s34
	s_cselect_b32 s79, -1, 0
	s_cmp_ge_i32 s2, s34
	.loc	1 34 20 is_stmt 0               ; attention_fwd.py:34:20
	s_cbranch_scc1 .LBB0_323
; %bb.322:                              ;   in Loop: Header=BB0_259 Depth=1
	.loc	1 33 21 is_stmt 1               ; attention_fwd.py:33:21
	v_readlane_b32 s2, v251, 4
	s_add_co_i32 s2, s2, s41
	s_wait_alu depctr_sa_sdst(0)
	s_ashr_i32 s3, s2, 31
	.loc	1 33 51 is_stmt 0               ; attention_fwd.py:33:51
	s_wait_alu depctr_sa_sdst(0)
	s_lshl_b64 s[2:3], s[2:3], 1
	s_wait_alu depctr_sa_sdst(0)
	v_add_co_u32 v131, vcc_lo, v85, s2
	s_wait_alu depctr_va_vcc(0)
	v_add_co_ci_u32_e64 v132, null, s3, v86, vcc_lo
	.loc	1 34 20 is_stmt 1               ; attention_fwd.py:34:20
	global_load_u16 v167, v[131:132], off
.LBB0_323:                              ;   in Loop: Header=BB0_259 Depth=1
	.loc	1 35 32                         ; attention_fwd.py:35:32
	ds_store_b16 v76, v65 offset:16384
	ds_store_b16 v76, v74 offset:20480
	;; [unrolled: 1-line block ×32, first 2 shown]
	s_wait_loadcnt_dscnt 0x0
	s_barrier_signal -1
	v_add_nc_u32_e32 v73, 0, v133
	s_barrier_wait -1
	global_inv scope:SCOPE_SE
	ds_load_b128 v[64:67], v73 offset:16384
	ds_load_b128 v[69:72], v90 offset:16384
	;; [unrolled: 1-line block ×3, first 2 shown]
	.loc	1 35 23 is_stmt 0               ; attention_fwd.py:35:23
	s_wait_dscnt 0x2
	v_wmma_f32_16x16x16_bf16 v[169:176], v[64:67], v[124:127], 0
	.loc	1 35 32                         ; attention_fwd.py:35:32
	ds_load_b128 v[64:67], v90 offset:20480
	.loc	1 35 23                         ; attention_fwd.py:35:23
	s_wait_dscnt 0x2
	v_wmma_f32_16x16x16_bf16 v[169:176], v[69:72], v[116:119], v[169:176]
	.loc	1 35 32                         ; attention_fwd.py:35:32
	ds_load_b128 v[69:72], v91 offset:16384
	ds_load_b128 v[181:184], v91 offset:20480
	.loc	1 35 23                         ; attention_fwd.py:35:23
	s_wait_dscnt 0x1
	v_wmma_f32_16x16x16_bf16 v[169:176], v[69:72], v[120:123], v[169:176]
	.loc	1 35 32                         ; attention_fwd.py:35:32
	ds_load_b128 v[69:72], v92 offset:16384
	;; [unrolled: 6-line block ×6, first 2 shown]
	ds_load_b128 v[201:204], v134 offset:20480
	.loc	1 35 23                         ; attention_fwd.py:35:23
	s_wait_dscnt 0x1
	v_wmma_f32_16x16x16_bf16 v[169:176], v[69:72], v[96:99], v[169:176]
	.loc	1 35 38                         ; attention_fwd.py:35:38
	s_wait_kmcnt 0x0
	s_delay_alu instid0(VALU_DEP_1) | instskip(NEXT) | instid1(VALU_DEP_2)
	v_dual_mul_f32 v74, s38, v169 :: v_dual_mul_f32 v75, s38, v170
	v_dual_mul_f32 v131, s38, v171 :: v_dual_mul_f32 v206, s38, v174
	s_delay_alu instid0(VALU_DEP_3) | instskip(SKIP_2) | instid1(VALU_DEP_1)
	v_dual_mul_f32 v132, s38, v172 :: v_dual_mul_f32 v205, s38, v173
	v_dual_mul_f32 v208, s38, v176 :: v_dual_mul_f32 v207, s38, v175
	.loc	1 35 23                         ; attention_fwd.py:35:23
	v_wmma_f32_16x16x16_bf16 v[169:176], v[177:180], v[124:127], 0
	v_wmma_f32_16x16x16_bf16 v[169:176], v[64:67], v[116:119], v[169:176]
	.loc	1 35 32                         ; attention_fwd.py:35:32
	ds_load_b128 v[64:67], v73 offset:24576
	ds_load_b128 v[69:72], v73 offset:28672
	;; [unrolled: 1-line block ×3, first 2 shown]
	.loc	1 35 23                         ; attention_fwd.py:35:23
	v_wmma_f32_16x16x16_bf16 v[169:176], v[181:184], v[120:123], v[169:176]
	s_delay_alu instid0(VALU_DEP_1) | instskip(NEXT) | instid1(VALU_DEP_1)
	v_wmma_f32_16x16x16_bf16 v[169:176], v[185:188], v[112:115], v[169:176]
	v_wmma_f32_16x16x16_bf16 v[169:176], v[189:192], v[108:111], v[169:176]
	s_delay_alu instid0(VALU_DEP_1) | instskip(NEXT) | instid1(VALU_DEP_1)
	v_wmma_f32_16x16x16_bf16 v[169:176], v[193:196], v[104:107], v[169:176]
	v_wmma_f32_16x16x16_bf16 v[169:176], v[197:200], v[100:103], v[169:176]
	s_wait_dscnt 0x3
	s_delay_alu instid0(VALU_DEP_1) | instskip(NEXT) | instid1(VALU_DEP_1)
	v_wmma_f32_16x16x16_bf16 v[169:176], v[201:204], v[96:99], v[169:176]
	.loc	1 35 38                         ; attention_fwd.py:35:38
	v_dual_mul_f32 v209, s38, v169 :: v_dual_mul_f32 v212, s38, v172
	s_delay_alu instid0(VALU_DEP_2) | instskip(NEXT) | instid1(VALU_DEP_3)
	v_dual_mul_f32 v210, s38, v170 :: v_dual_mul_f32 v211, s38, v171
	v_dual_mul_f32 v214, s38, v174 :: v_dual_mul_f32 v213, s38, v173
	s_delay_alu instid0(VALU_DEP_4)
	v_dual_mul_f32 v216, s38, v176 :: v_dual_mul_f32 v215, s38, v175
	.loc	1 35 23                         ; attention_fwd.py:35:23
	s_wait_dscnt 0x2
	v_wmma_f32_16x16x16_bf16 v[169:176], v[64:67], v[124:127], 0
	.loc	1 35 32                         ; attention_fwd.py:35:32
	ds_load_b128 v[64:67], v90 offset:28672
	.loc	1 35 23                         ; attention_fwd.py:35:23
	s_wait_dscnt 0x1
	v_wmma_f32_16x16x16_bf16 v[169:176], v[177:180], v[116:119], v[169:176]
	.loc	1 35 32                         ; attention_fwd.py:35:32
	ds_load_b128 v[177:180], v91 offset:24576
	ds_load_b128 v[181:184], v91 offset:28672
	.loc	1 35 23                         ; attention_fwd.py:35:23
	s_wait_dscnt 0x1
	v_wmma_f32_16x16x16_bf16 v[169:176], v[177:180], v[120:123], v[169:176]
	.loc	1 35 32                         ; attention_fwd.py:35:32
	ds_load_b128 v[177:180], v92 offset:24576
	;; [unrolled: 6-line block ×6, first 2 shown]
	ds_load_b128 v[201:204], v134 offset:28672
	.loc	1 35 23                         ; attention_fwd.py:35:23
	s_wait_dscnt 0x1
	v_wmma_f32_16x16x16_bf16 v[169:176], v[177:180], v[96:99], v[169:176]
	s_delay_alu instid0(VALU_DEP_1) | instskip(NEXT) | instid1(VALU_DEP_2)
	.loc	1 35 38                         ; attention_fwd.py:35:38
	v_dual_mul_f32 v73, s38, v169 :: v_dual_mul_f32 v178, s38, v171
	v_dual_mul_f32 v177, s38, v170 :: v_dual_mul_f32 v220, s38, v176
	s_delay_alu instid0(VALU_DEP_3) | instskip(NEXT) | instid1(VALU_DEP_4)
	v_dual_mul_f32 v180, s38, v172 :: v_dual_mul_f32 v217, s38, v173
	v_dual_mul_f32 v218, s38, v174 :: v_dual_mul_f32 v219, s38, v175
	.loc	1 35 23                         ; attention_fwd.py:35:23
	v_wmma_f32_16x16x16_bf16 v[169:176], v[69:72], v[124:127], 0
	s_delay_alu instid0(VALU_DEP_1) | instskip(NEXT) | instid1(VALU_DEP_1)
	v_wmma_f32_16x16x16_bf16 v[169:176], v[64:67], v[116:119], v[169:176]
	v_wmma_f32_16x16x16_bf16 v[169:176], v[181:184], v[120:123], v[169:176]
	s_delay_alu instid0(VALU_DEP_1) | instskip(NEXT) | instid1(VALU_DEP_1)
	v_wmma_f32_16x16x16_bf16 v[169:176], v[185:188], v[112:115], v[169:176]
	;; [unrolled: 3-line block ×3, first 2 shown]
	v_wmma_f32_16x16x16_bf16 v[169:176], v[197:200], v[100:103], v[169:176]
	s_wait_dscnt 0x0
	s_delay_alu instid0(VALU_DEP_1) | instskip(NEXT) | instid1(VALU_DEP_1)
	v_wmma_f32_16x16x16_bf16 v[169:176], v[201:204], v[96:99], v[169:176]
	.loc	1 35 38                         ; attention_fwd.py:35:38
	v_dual_mul_f32 v64, s38, v169 :: v_dual_add_nc_u32 v169, s47, v128
	s_delay_alu instid0(VALU_DEP_2) | instskip(NEXT) | instid1(VALU_DEP_3)
	v_dual_mul_f32 v65, s38, v170 :: v_dual_mul_f32 v66, s38, v171
	v_mul_f32_e32 v71, s38, v175
	s_delay_alu instid0(VALU_DEP_4) | instskip(NEXT) | instid1(VALU_DEP_4)
	v_dual_mul_f32 v69, s38, v173 :: v_dual_mul_f32 v72, s38, v176
	.loc	1 32 27 is_stmt 1               ; attention_fwd.py:32:27
	v_add_nc_u32_e32 v170, 1, v169
	.loc	1 36 40                         ; attention_fwd.py:36:40
	v_cmp_gt_i32_e64 s33, s34, v169
	.loc	1 35 38                         ; attention_fwd.py:35:38
	v_dual_mul_f32 v67, s38, v172 :: v_dual_mul_f32 v70, s38, v174
	s_delay_alu instid0(VALU_DEP_3) | instskip(SKIP_1) | instid1(VALU_DEP_3)
	.loc	1 36 40                         ; attention_fwd.py:36:40
	v_cmp_gt_i32_e32 vcc_lo, s34, v170
	.loc	1 36 52 is_stmt 0               ; attention_fwd.py:36:52
	s_wait_alu depctr_va_sdst(0)
	v_cndmask_b32_e64 v181, 0xff800000, v74, s33
	s_wait_alu depctr_va_vcc(0)
	v_cndmask_b32_e32 v182, 0xff800000, v75, vcc_lo
	s_delay_alu instid0(VALU_DEP_1) | instskip(SKIP_1) | instid1(VALU_DEP_1)
.Ltmp3:
	.loc	2 170 27 is_stmt 1              ; standard.py:170:27 @[ standard.py:191:40 @[ attention_fwd.py:39:42 ] ]
	v_max_num_f32_e32 v74, v181, v182
.Ltmp4:
	.loc	1 32 27                         ; attention_fwd.py:32:27
	v_add_nc_u32_e32 v170, 2, v169
	.loc	1 36 40                         ; attention_fwd.py:36:40
	v_cmp_gt_i32_e64 s2, s34, v170
	.loc	1 32 27                         ; attention_fwd.py:32:27
	v_add_nc_u32_e32 v170, 3, v169
	.loc	1 36 52                         ; attention_fwd.py:36:52
	s_wait_alu depctr_va_sdst(0)
	s_delay_alu instid0(VALU_DEP_2) | instskip(NEXT) | instid1(VALU_DEP_2)
	v_cndmask_b32_e64 v183, 0xff800000, v131, s2
	.loc	1 36 40 is_stmt 0               ; attention_fwd.py:36:40
	v_cmp_gt_i32_e64 s3, s34, v170
	.loc	1 32 27 is_stmt 1               ; attention_fwd.py:32:27
	v_add_nc_u32_e32 v170, 4, v169
	.loc	1 36 52                         ; attention_fwd.py:36:52
	s_wait_alu depctr_va_sdst(0)
	s_delay_alu instid0(VALU_DEP_2) | instskip(NEXT) | instid1(VALU_DEP_2)
	v_cndmask_b32_e64 v184, 0xff800000, v132, s3
	.loc	1 36 40 is_stmt 0               ; attention_fwd.py:36:40
	v_cmp_gt_i32_e64 s4, s34, v170
	.loc	1 32 27 is_stmt 1               ; attention_fwd.py:32:27
	v_add_nc_u32_e32 v170, 5, v169
	s_delay_alu instid0(VALU_DEP_3) | instskip(SKIP_1) | instid1(VALU_DEP_3)
.Ltmp5:
	.loc	2 170 27                        ; standard.py:170:27 @[ standard.py:191:40 @[ attention_fwd.py:39:42 ] ]
	v_max3_num_f32 v74, v74, v183, v184
.Ltmp6:
	.loc	1 36 52                         ; attention_fwd.py:36:52
	s_wait_alu depctr_va_sdst(0)
	v_cndmask_b32_e64 v185, 0xff800000, v205, s4
	s_delay_alu instid0(VALU_DEP_3) | instskip(SKIP_2) | instid1(VALU_DEP_2)
	.loc	1 36 40 is_stmt 0               ; attention_fwd.py:36:40
	v_cmp_gt_i32_e64 s5, s34, v170
	.loc	1 32 27 is_stmt 1               ; attention_fwd.py:32:27
	v_add_nc_u32_e32 v170, 6, v169
	.loc	1 36 52                         ; attention_fwd.py:36:52
	s_wait_alu depctr_va_sdst(0)
	v_cndmask_b32_e64 v186, 0xff800000, v206, s5
	s_delay_alu instid0(VALU_DEP_2) | instskip(SKIP_1) | instid1(VALU_DEP_3)
	.loc	1 36 40 is_stmt 0               ; attention_fwd.py:36:40
	v_cmp_gt_i32_e64 s6, s34, v170
	.loc	1 32 27 is_stmt 1               ; attention_fwd.py:32:27
	v_add_nc_u32_e32 v170, 7, v169
.Ltmp7:
	.loc	2 170 27                        ; standard.py:170:27 @[ standard.py:191:40 @[ attention_fwd.py:39:42 ] ]
	v_max3_num_f32 v74, v74, v185, v186
.Ltmp8:
	.loc	1 36 52                         ; attention_fwd.py:36:52
	s_wait_alu depctr_va_sdst(0)
	s_delay_alu instid0(VALU_DEP_3) | instskip(NEXT) | instid1(VALU_DEP_3)
	v_cndmask_b32_e64 v187, 0xff800000, v207, s6
	.loc	1 36 40 is_stmt 0               ; attention_fwd.py:36:40
	v_cmp_gt_i32_e64 s7, s34, v170
	.loc	1 32 27 is_stmt 1               ; attention_fwd.py:32:27
	v_add_nc_u32_e32 v170, 16, v169
	.loc	1 36 52                         ; attention_fwd.py:36:52
	s_wait_alu depctr_va_sdst(0)
	s_delay_alu instid0(VALU_DEP_2) | instskip(NEXT) | instid1(VALU_DEP_2)
	v_cndmask_b32_e64 v188, 0xff800000, v208, s7
	.loc	1 36 40 is_stmt 0               ; attention_fwd.py:36:40
	v_cmp_gt_i32_e64 s8, s34, v170
	.loc	1 32 27 is_stmt 1               ; attention_fwd.py:32:27
	v_add_nc_u32_e32 v170, 17, v169
	s_delay_alu instid0(VALU_DEP_3) | instskip(SKIP_1) | instid1(VALU_DEP_3)
.Ltmp9:
	.loc	2 170 27                        ; standard.py:170:27 @[ standard.py:191:40 @[ attention_fwd.py:39:42 ] ]
	v_max3_num_f32 v74, v74, v187, v188
.Ltmp10:
	.loc	1 36 52                         ; attention_fwd.py:36:52
	s_wait_alu depctr_va_sdst(0)
	v_cndmask_b32_e64 v189, 0xff800000, v209, s8
	s_delay_alu instid0(VALU_DEP_3) | instskip(SKIP_2) | instid1(VALU_DEP_2)
	.loc	1 36 40 is_stmt 0               ; attention_fwd.py:36:40
	v_cmp_gt_i32_e64 s9, s34, v170
	.loc	1 32 27 is_stmt 1               ; attention_fwd.py:32:27
	v_add_nc_u32_e32 v170, 18, v169
	.loc	1 36 52                         ; attention_fwd.py:36:52
	s_wait_alu depctr_va_sdst(0)
	v_cndmask_b32_e64 v190, 0xff800000, v210, s9
	s_delay_alu instid0(VALU_DEP_2) | instskip(SKIP_1) | instid1(VALU_DEP_3)
	.loc	1 36 40 is_stmt 0               ; attention_fwd.py:36:40
	v_cmp_gt_i32_e64 s10, s34, v170
	.loc	1 32 27 is_stmt 1               ; attention_fwd.py:32:27
	v_add_nc_u32_e32 v170, 19, v169
.Ltmp11:
	.loc	2 170 27                        ; standard.py:170:27 @[ standard.py:191:40 @[ attention_fwd.py:39:42 ] ]
	v_max3_num_f32 v74, v74, v189, v190
.Ltmp12:
	.loc	1 36 52                         ; attention_fwd.py:36:52
	s_wait_alu depctr_va_sdst(0)
	s_delay_alu instid0(VALU_DEP_3) | instskip(NEXT) | instid1(VALU_DEP_3)
	v_cndmask_b32_e64 v191, 0xff800000, v211, s10
	.loc	1 36 40 is_stmt 0               ; attention_fwd.py:36:40
	v_cmp_gt_i32_e64 s11, s34, v170
	.loc	1 32 27 is_stmt 1               ; attention_fwd.py:32:27
	v_add_nc_u32_e32 v170, 20, v169
	.loc	1 36 52                         ; attention_fwd.py:36:52
	s_wait_alu depctr_va_sdst(0)
	s_delay_alu instid0(VALU_DEP_2) | instskip(NEXT) | instid1(VALU_DEP_2)
	v_cndmask_b32_e64 v192, 0xff800000, v212, s11
	.loc	1 36 40 is_stmt 0               ; attention_fwd.py:36:40
	v_cmp_gt_i32_e64 s12, s34, v170
	.loc	1 32 27 is_stmt 1               ; attention_fwd.py:32:27
	v_add_nc_u32_e32 v170, 21, v169
	s_delay_alu instid0(VALU_DEP_3) | instskip(SKIP_1) | instid1(VALU_DEP_3)
.Ltmp13:
	.loc	2 170 27                        ; standard.py:170:27 @[ standard.py:191:40 @[ attention_fwd.py:39:42 ] ]
	v_max3_num_f32 v74, v74, v191, v192
.Ltmp14:
	.loc	1 36 52                         ; attention_fwd.py:36:52
	s_wait_alu depctr_va_sdst(0)
	v_cndmask_b32_e64 v193, 0xff800000, v213, s12
	s_delay_alu instid0(VALU_DEP_3) | instskip(SKIP_2) | instid1(VALU_DEP_2)
	.loc	1 36 40 is_stmt 0               ; attention_fwd.py:36:40
	v_cmp_gt_i32_e64 s13, s34, v170
	.loc	1 32 27 is_stmt 1               ; attention_fwd.py:32:27
	v_add_nc_u32_e32 v170, 22, v169
	.loc	1 36 52                         ; attention_fwd.py:36:52
	s_wait_alu depctr_va_sdst(0)
	v_cndmask_b32_e64 v194, 0xff800000, v214, s13
	s_delay_alu instid0(VALU_DEP_2) | instskip(SKIP_1) | instid1(VALU_DEP_3)
	.loc	1 36 40 is_stmt 0               ; attention_fwd.py:36:40
	v_cmp_gt_i32_e64 s14, s34, v170
	.loc	1 32 27 is_stmt 1               ; attention_fwd.py:32:27
	v_add_nc_u32_e32 v170, 23, v169
.Ltmp15:
	.loc	2 170 27                        ; standard.py:170:27 @[ standard.py:191:40 @[ attention_fwd.py:39:42 ] ]
	v_max3_num_f32 v74, v74, v193, v194
.Ltmp16:
	.loc	1 36 52                         ; attention_fwd.py:36:52
	s_wait_alu depctr_va_sdst(0)
	s_delay_alu instid0(VALU_DEP_3) | instskip(NEXT) | instid1(VALU_DEP_3)
	v_cndmask_b32_e64 v195, 0xff800000, v215, s14
	.loc	1 36 40 is_stmt 0               ; attention_fwd.py:36:40
	v_cmp_gt_i32_e64 s15, s34, v170
	.loc	1 32 27 is_stmt 1               ; attention_fwd.py:32:27
	v_add_nc_u32_e32 v170, 32, v169
	.loc	1 36 52                         ; attention_fwd.py:36:52
	s_wait_alu depctr_va_sdst(0)
	s_delay_alu instid0(VALU_DEP_2) | instskip(NEXT) | instid1(VALU_DEP_2)
	v_cndmask_b32_e64 v196, 0xff800000, v216, s15
	.loc	1 36 40 is_stmt 0               ; attention_fwd.py:36:40
	v_cmp_gt_i32_e64 s16, s34, v170
	.loc	1 32 27 is_stmt 1               ; attention_fwd.py:32:27
	v_add_nc_u32_e32 v170, 33, v169
	.loc	1 36 52                         ; attention_fwd.py:36:52
	s_wait_alu depctr_va_sdst(0)
	s_delay_alu instid0(VALU_DEP_2) | instskip(NEXT) | instid1(VALU_DEP_2)
	v_cndmask_b32_e64 v197, 0xff800000, v73, s16
	.loc	1 36 40 is_stmt 0               ; attention_fwd.py:36:40
	v_cmp_gt_i32_e64 s17, s34, v170
	.loc	1 32 27 is_stmt 1               ; attention_fwd.py:32:27
	v_add_nc_u32_e32 v170, 34, v169
.Ltmp17:
	.loc	2 170 27                        ; standard.py:170:27 @[ standard.py:191:40 @[ attention_fwd.py:39:42 ] ]
	v_max3_num_f32 v73, v74, v195, v196
.Ltmp18:
	.loc	1 36 52                         ; attention_fwd.py:36:52
	s_wait_alu depctr_va_sdst(0)
	s_delay_alu instid0(VALU_DEP_3) | instskip(NEXT) | instid1(VALU_DEP_3)
	v_cndmask_b32_e64 v179, 0xff800000, v177, s17
	.loc	1 36 40 is_stmt 0               ; attention_fwd.py:36:40
	v_cmp_gt_i32_e64 s18, s34, v170
	.loc	1 32 27 is_stmt 1               ; attention_fwd.py:32:27
	v_add_nc_u32_e32 v170, 35, v169
	s_delay_alu instid0(VALU_DEP_3) | instskip(SKIP_1) | instid1(VALU_DEP_3)
.Ltmp19:
	.loc	2 170 27                        ; standard.py:170:27 @[ standard.py:191:40 @[ attention_fwd.py:39:42 ] ]
	v_max3_num_f32 v73, v73, v197, v179
.Ltmp20:
	.loc	1 36 52                         ; attention_fwd.py:36:52
	s_wait_alu depctr_va_sdst(0)
	v_cndmask_b32_e64 v175, 0xff800000, v178, s18
	s_delay_alu instid0(VALU_DEP_3) | instskip(SKIP_2) | instid1(VALU_DEP_2)
	.loc	1 36 40 is_stmt 0               ; attention_fwd.py:36:40
	v_cmp_gt_i32_e64 s19, s34, v170
	.loc	1 32 27 is_stmt 1               ; attention_fwd.py:32:27
	v_add_nc_u32_e32 v170, 36, v169
	.loc	1 36 52                         ; attention_fwd.py:36:52
	s_wait_alu depctr_va_sdst(0)
	v_cndmask_b32_e64 v178, 0xff800000, v180, s19
	s_delay_alu instid0(VALU_DEP_2) | instskip(SKIP_1) | instid1(VALU_DEP_3)
	.loc	1 36 40 is_stmt 0               ; attention_fwd.py:36:40
	v_cmp_gt_i32_e64 s20, s34, v170
	.loc	1 32 27 is_stmt 1               ; attention_fwd.py:32:27
	v_add_nc_u32_e32 v170, 37, v169
.Ltmp21:
	.loc	2 170 27                        ; standard.py:170:27 @[ standard.py:191:40 @[ attention_fwd.py:39:42 ] ]
	v_max3_num_f32 v73, v73, v175, v178
.Ltmp22:
	.loc	1 36 52                         ; attention_fwd.py:36:52
	s_wait_alu depctr_va_sdst(0)
	s_delay_alu instid0(VALU_DEP_3) | instskip(NEXT) | instid1(VALU_DEP_3)
	v_cndmask_b32_e64 v177, 0xff800000, v217, s20
	.loc	1 36 40 is_stmt 0               ; attention_fwd.py:36:40
	v_cmp_gt_i32_e64 s21, s34, v170
	.loc	1 32 27 is_stmt 1               ; attention_fwd.py:32:27
	v_add_nc_u32_e32 v170, 38, v169
	.loc	1 36 52                         ; attention_fwd.py:36:52
	s_wait_alu depctr_va_sdst(0)
	s_delay_alu instid0(VALU_DEP_2) | instskip(NEXT) | instid1(VALU_DEP_2)
	v_cndmask_b32_e64 v176, 0xff800000, v218, s21
	.loc	1 36 40 is_stmt 0               ; attention_fwd.py:36:40
	v_cmp_gt_i32_e64 s22, s34, v170
	.loc	1 32 27 is_stmt 1               ; attention_fwd.py:32:27
	v_add_nc_u32_e32 v170, 39, v169
	s_delay_alu instid0(VALU_DEP_3) | instskip(SKIP_1) | instid1(VALU_DEP_3)
.Ltmp23:
	.loc	2 170 27                        ; standard.py:170:27 @[ standard.py:191:40 @[ attention_fwd.py:39:42 ] ]
	v_max3_num_f32 v73, v73, v177, v176
.Ltmp24:
	.loc	1 36 52                         ; attention_fwd.py:36:52
	s_wait_alu depctr_va_sdst(0)
	v_cndmask_b32_e64 v174, 0xff800000, v219, s22
	s_delay_alu instid0(VALU_DEP_3) | instskip(SKIP_2) | instid1(VALU_DEP_2)
	.loc	1 36 40 is_stmt 0               ; attention_fwd.py:36:40
	v_cmp_gt_i32_e64 s23, s34, v170
	.loc	1 32 27 is_stmt 1               ; attention_fwd.py:32:27
	v_add_nc_u32_e32 v170, 48, v169
	.loc	1 36 52                         ; attention_fwd.py:36:52
	s_wait_alu depctr_va_sdst(0)
	v_cndmask_b32_e64 v173, 0xff800000, v220, s23
	s_delay_alu instid0(VALU_DEP_2) | instskip(SKIP_2) | instid1(VALU_DEP_2)
	.loc	1 36 40 is_stmt 0               ; attention_fwd.py:36:40
	v_cmp_gt_i32_e64 s24, s34, v170
	.loc	1 32 27 is_stmt 1               ; attention_fwd.py:32:27
	v_add_nc_u32_e32 v170, 49, v169
	.loc	1 36 52                         ; attention_fwd.py:36:52
	s_wait_alu depctr_va_sdst(0)
	v_cndmask_b32_e64 v172, 0xff800000, v64, s24
	s_delay_alu instid0(VALU_DEP_2) | instskip(SKIP_3) | instid1(VALU_DEP_3)
	.loc	1 36 40 is_stmt 0               ; attention_fwd.py:36:40
	v_cmp_gt_i32_e64 s25, s34, v170
	.loc	1 32 27 is_stmt 1               ; attention_fwd.py:32:27
	v_add_nc_u32_e32 v170, 50, v169
.Ltmp25:
	.loc	2 170 27                        ; standard.py:170:27 @[ standard.py:191:40 @[ attention_fwd.py:39:42 ] ]
	v_max3_num_f32 v64, v73, v174, v173
.Ltmp26:
	.loc	1 36 52                         ; attention_fwd.py:36:52
	s_wait_alu depctr_va_sdst(0)
	v_cndmask_b32_e64 v171, 0xff800000, v65, s25
	s_delay_alu instid0(VALU_DEP_3) | instskip(SKIP_1) | instid1(VALU_DEP_3)
	.loc	1 36 40 is_stmt 0               ; attention_fwd.py:36:40
	v_cmp_gt_i32_e64 s26, s34, v170
	.loc	1 32 27 is_stmt 1               ; attention_fwd.py:32:27
	v_add_nc_u32_e32 v170, 51, v169
.Ltmp27:
	.loc	2 170 27                        ; standard.py:170:27 @[ standard.py:191:40 @[ attention_fwd.py:39:42 ] ]
	v_max3_num_f32 v64, v64, v172, v171
	s_delay_alu instid0(VALU_DEP_2) | instskip(SKIP_1) | instid1(VALU_DEP_1)
.Ltmp28:
	.loc	1 36 40                         ; attention_fwd.py:36:40
	v_cmp_gt_i32_e64 s27, s34, v170
	.loc	1 32 27                         ; attention_fwd.py:32:27
	v_add_nc_u32_e32 v170, 52, v169
	.loc	1 36 40                         ; attention_fwd.py:36:40
	v_cmp_gt_i32_e64 s28, s34, v170
	.loc	1 32 27                         ; attention_fwd.py:32:27
	v_add_nc_u32_e32 v170, 53, v169
	.loc	1 36 52                         ; attention_fwd.py:36:52
	s_wait_alu depctr_va_sdst(0)
	s_delay_alu instid0(VALU_DEP_2) | instskip(NEXT) | instid1(VALU_DEP_2)
	v_cndmask_b32_e64 v131, 0xff800000, v69, s28
	.loc	1 36 40 is_stmt 0               ; attention_fwd.py:36:40
	v_cmp_gt_i32_e64 s29, s34, v170
	.loc	1 32 27 is_stmt 1               ; attention_fwd.py:32:27
	v_add_nc_u32_e32 v170, 54, v169
	.loc	1 36 52                         ; attention_fwd.py:36:52
	s_wait_alu depctr_va_sdst(0)
	s_delay_alu instid0(VALU_DEP_2) | instskip(NEXT) | instid1(VALU_DEP_2)
	v_cndmask_b32_e64 v75, 0xff800000, v70, s29
	.loc	1 36 40 is_stmt 0               ; attention_fwd.py:36:40
	v_cmp_gt_i32_e64 s30, s34, v170
	.loc	1 33 39 is_stmt 1               ; attention_fwd.py:33:39
	v_add_nc_u32_e32 v170, 55, v169
	.loc	1 36 52                         ; attention_fwd.py:36:52
	v_cndmask_b32_e64 v169, 0xff800000, v67, s27
	s_wait_alu depctr_va_sdst(0)
	s_delay_alu instid0(VALU_DEP_3) | instskip(NEXT) | instid1(VALU_DEP_3)
	v_cndmask_b32_e64 v74, 0xff800000, v71, s30
	.loc	1 36 40 is_stmt 0               ; attention_fwd.py:36:40
	v_cmp_gt_i32_e64 s31, s34, v170
	.loc	1 36 52                         ; attention_fwd.py:36:52
	v_cndmask_b32_e64 v170, 0xff800000, v66, s26
	s_wait_alu depctr_va_sdst(0)
	s_delay_alu instid0(VALU_DEP_2) | instskip(NEXT) | instid1(VALU_DEP_2)
	v_cndmask_b32_e64 v73, 0xff800000, v72, s31
.Ltmp29:
	.loc	2 170 27 is_stmt 1              ; standard.py:170:27 @[ standard.py:191:40 @[ attention_fwd.py:39:42 ] ]
	v_max3_num_f32 v64, v64, v170, v169
	s_delay_alu instid0(VALU_DEP_1) | instskip(NEXT) | instid1(VALU_DEP_1)
	v_max3_num_f32 v64, v64, v131, v75
	v_max3_num_f32 v64, v64, v74, v73
	s_delay_alu instid0(VALU_DEP_1) | instskip(NEXT) | instid1(VALU_DEP_1)
.Ltmp30:
	.loc	2 191 40                        ; standard.py:191:40 @[ attention_fwd.py:39:42 ]
	v_permlanex16_b32 v65, v64, s0, 0xfedcba98 op_sel:[1,0]
.Ltmp31:
	.loc	1 39 31                         ; attention_fwd.py:39:31
	v_max3_num_f32 v132, v68, v64, v65
	s_delay_alu instid0(VALU_DEP_1)
	.loc	1 40 24                         ; attention_fwd.py:40:24
	v_sub_f32_e32 v64, v181, v132
	v_sub_f32_e32 v171, v171, v132
	;; [unrolled: 1-line block ×5, first 2 shown]
	.loc	1 40 19 is_stmt 0               ; attention_fwd.py:40:19
	v_mul_f32_e32 v65, 0x3fb8aa3b, v64
	.loc	1 40 24                         ; attention_fwd.py:40:24
	v_sub_f32_e32 v179, v179, v132
	v_sub_f32_e32 v175, v175, v132
	;; [unrolled: 1-line block ×4, first 2 shown]
	.loc	1 40 19                         ; attention_fwd.py:40:19
	v_cmp_gt_f32_e32 vcc_lo, 0xc2fc0000, v65
	.loc	1 40 24                         ; attention_fwd.py:40:24
	v_sub_f32_e32 v169, v169, v132
	v_sub_f32_e32 v131, v131, v132
	;; [unrolled: 1-line block ×3, first 2 shown]
	.loc	1 40 19                         ; attention_fwd.py:40:19
	s_wait_alu depctr_va_vcc(0)
	v_cndmask_b32_e64 v65, 0, 0x42800000, vcc_lo
	s_delay_alu instid0(VALU_DEP_1) | instskip(SKIP_1) | instid1(VALU_DEP_1)
	v_fmac_f32_e32 v65, 0x3fb8aa3b, v64
	.loc	1 40 24                         ; attention_fwd.py:40:24
	v_sub_f32_e32 v64, v182, v132
	.loc	1 40 19                         ; attention_fwd.py:40:19
	v_mul_f32_e32 v66, 0x3fb8aa3b, v64
	s_delay_alu instid0(VALU_DEP_1) | instskip(SKIP_1) | instid1(VALU_DEP_1)
	v_cmp_gt_f32_e64 s2, 0xc2fc0000, v66
	s_wait_alu depctr_va_sdst(0)
	v_cndmask_b32_e64 v66, 0, 0x42800000, s2
	s_delay_alu instid0(VALU_DEP_1)
	v_fmac_f32_e32 v66, 0x3fb8aa3b, v64
	v_exp_f32_e32 v64, v65
	v_cndmask_b32_e64 v65, 0, 0xffffffc0, vcc_lo
	s_delay_alu instid0(TRANS32_DEP_1) | instid1(VALU_DEP_1)
	v_ldexp_f32 v64, v64, v65
	.loc	1 40 24                         ; attention_fwd.py:40:24
	v_sub_f32_e32 v65, v183, v132
	s_delay_alu instid0(VALU_DEP_1) | instskip(NEXT) | instid1(VALU_DEP_1)
	.loc	1 40 19                         ; attention_fwd.py:40:19
	v_mul_f32_e32 v67, 0x3fb8aa3b, v65
	v_cmp_gt_f32_e32 vcc_lo, 0xc2fc0000, v67
	s_wait_alu depctr_va_vcc(0)
	v_cndmask_b32_e64 v67, 0, 0x42800000, vcc_lo
	s_delay_alu instid0(VALU_DEP_1) | instskip(SKIP_1) | instid1(VALU_DEP_1)
	v_fmac_f32_e32 v67, 0x3fb8aa3b, v65
	.loc	1 40 24                         ; attention_fwd.py:40:24
	v_sub_f32_e32 v65, v184, v132
	.loc	1 40 19                         ; attention_fwd.py:40:19
	v_mul_f32_e32 v69, 0x3fb8aa3b, v65
	s_delay_alu instid0(VALU_DEP_1) | instskip(SKIP_1) | instid1(VALU_DEP_1)
	v_cmp_gt_f32_e64 s3, 0xc2fc0000, v69
	s_wait_alu depctr_va_sdst(0)
	v_cndmask_b32_e64 v70, 0, 0x42800000, s3
	s_delay_alu instid0(VALU_DEP_1) | instskip(NEXT) | instid1(VALU_DEP_1)
	v_dual_fmac_f32 v70, 0x3fb8aa3b, v65 :: v_dual_sub_f32 v65, v185, v132
	v_mul_f32_e32 v69, 0x3fb8aa3b, v65
	s_delay_alu instid0(VALU_DEP_1) | instskip(SKIP_1) | instid1(VALU_DEP_1)
	v_cmp_gt_f32_e64 s4, 0xc2fc0000, v69
	s_wait_alu depctr_va_sdst(0)
	v_cndmask_b32_e64 v71, 0, 0x42800000, s4
	s_delay_alu instid0(VALU_DEP_1)
	v_fmac_f32_e32 v71, 0x3fb8aa3b, v65
	v_exp_f32_e32 v65, v66
	v_cndmask_b32_e64 v66, 0, 0xffffffc0, s2
	s_delay_alu instid0(TRANS32_DEP_1) | instid1(VALU_DEP_1)
	v_ldexp_f32 v69, v65, v66
	.loc	1 40 24                         ; attention_fwd.py:40:24
	v_sub_f32_e32 v65, v186, v132
	s_delay_alu instid0(VALU_DEP_1) | instskip(NEXT) | instid1(VALU_DEP_1)
	.loc	1 40 19                         ; attention_fwd.py:40:19
	v_mul_f32_e32 v66, 0x3fb8aa3b, v65
	v_cmp_gt_f32_e64 s2, 0xc2fc0000, v66
	v_cndmask_b32_e64 v66, 0, 0xffffffc0, vcc_lo
	s_wait_alu depctr_va_sdst(0)
	s_delay_alu instid0(VALU_DEP_2) | instskip(NEXT) | instid1(VALU_DEP_1)
	v_cndmask_b32_e64 v72, 0, 0x42800000, s2
	v_fmac_f32_e32 v72, 0x3fb8aa3b, v65
	v_exp_f32_e32 v65, v67
	v_cndmask_b32_e64 v67, 0, 0xffffffc0, s3
	s_delay_alu instid0(TRANS32_DEP_1) | instskip(SKIP_1) | instid1(TRANS32_DEP_1)
	v_ldexp_f32 v65, v65, v66
	v_exp_f32_e32 v66, v70
	v_ldexp_f32 v70, v66, v67
	v_exp_f32_e32 v66, v71
	v_cndmask_b32_e64 v67, 0, 0xffffffc0, s4
	s_delay_alu instid0(TRANS32_DEP_1) | instid1(VALU_DEP_1)
	v_ldexp_f32 v66, v66, v67
	.loc	1 40 24                         ; attention_fwd.py:40:24
	v_sub_f32_e32 v67, v187, v132
	s_delay_alu instid0(VALU_DEP_1) | instskip(NEXT) | instid1(VALU_DEP_1)
	.loc	1 40 19                         ; attention_fwd.py:40:19
	v_mul_f32_e32 v71, 0x3fb8aa3b, v67
	v_cmp_gt_f32_e32 vcc_lo, 0xc2fc0000, v71
	s_wait_alu depctr_va_vcc(0)
	v_cndmask_b32_e64 v71, 0, 0x42800000, vcc_lo
	s_delay_alu instid0(VALU_DEP_1) | instskip(SKIP_2) | instid1(VALU_DEP_2)
	v_fmac_f32_e32 v71, 0x3fb8aa3b, v67
	v_exp_f32_e32 v67, v72
	v_cndmask_b32_e64 v72, 0, 0xffffffc0, s2
	v_exp_f32_e32 v71, v71
	s_delay_alu instid0(TRANS32_DEP_2) | instid1(VALU_DEP_1)
	v_ldexp_f32 v67, v67, v72
	.loc	1 40 24                         ; attention_fwd.py:40:24
	v_sub_f32_e32 v72, v188, v132
	s_delay_alu instid0(VALU_DEP_1) | instskip(NEXT) | instid1(VALU_DEP_1)
	.loc	1 40 19                         ; attention_fwd.py:40:19
	v_mul_f32_e32 v180, 0x3fb8aa3b, v72
	v_cmp_gt_f32_e64 s2, 0xc2fc0000, v180
	s_wait_alu depctr_va_sdst(0)
	s_delay_alu instid0(VALU_DEP_1) | instskip(NEXT) | instid1(VALU_DEP_1)
	v_cndmask_b32_e64 v180, 0, 0x42800000, s2
	v_fmac_f32_e32 v180, 0x3fb8aa3b, v72
	.loc	1 40 24                         ; attention_fwd.py:40:24
	v_sub_f32_e32 v72, v189, v132
	s_delay_alu instid0(VALU_DEP_1) | instskip(NEXT) | instid1(VALU_DEP_1)
	.loc	1 40 19                         ; attention_fwd.py:40:19
	v_mul_f32_e32 v181, 0x3fb8aa3b, v72
	v_cmp_gt_f32_e64 s3, 0xc2fc0000, v181
	s_wait_alu depctr_va_sdst(0)
	s_delay_alu instid0(VALU_DEP_1) | instskip(NEXT) | instid1(VALU_DEP_1)
	v_cndmask_b32_e64 v181, 0, 0x42800000, s3
	v_fmac_f32_e32 v181, 0x3fb8aa3b, v72
	;; [unrolled: 10-line block ×3, first 2 shown]
	v_cndmask_b32_e64 v72, 0, 0xffffffc0, vcc_lo
	s_delay_alu instid0(VALU_DEP_1) | instskip(SKIP_1) | instid1(VALU_DEP_1)
	v_ldexp_f32 v71, v71, v72
	.loc	1 40 24                         ; attention_fwd.py:40:24
	v_sub_f32_e32 v72, v191, v132
	.loc	1 40 19                         ; attention_fwd.py:40:19
	v_mul_f32_e32 v183, 0x3fb8aa3b, v72
	s_delay_alu instid0(VALU_DEP_1) | instskip(SKIP_2) | instid1(VALU_DEP_1)
	v_cmp_gt_f32_e32 vcc_lo, 0xc2fc0000, v183
	s_wait_alu depctr_va_vcc(0)
	v_cndmask_b32_e64 v183, 0, 0x42800000, vcc_lo
	v_fmac_f32_e32 v183, 0x3fb8aa3b, v72
	v_exp_f32_e32 v72, v180
	v_cndmask_b32_e64 v180, 0, 0xffffffc0, s2
	s_delay_alu instid0(TRANS32_DEP_1) | instid1(VALU_DEP_1)
	v_ldexp_f32 v72, v72, v180
	v_exp_f32_e32 v180, v181
	v_cndmask_b32_e64 v181, 0, 0xffffffc0, s3
	s_delay_alu instid0(TRANS32_DEP_1) | instid1(VALU_DEP_1)
	v_ldexp_f32 v200, v180, v181
	v_exp_f32_e32 v180, v182
	v_cndmask_b32_e64 v181, 0, 0xffffffc0, s4
	v_cndmask_b32_e64 v182, 0, 0xffffffc0, vcc_lo
	s_delay_alu instid0(TRANS32_DEP_1) | instid1(VALU_DEP_2)
	v_ldexp_f32 v203, v180, v181
	.loc	1 40 24                         ; attention_fwd.py:40:24
	v_sub_f32_e32 v180, v192, v132
	s_delay_alu instid0(VALU_DEP_1) | instskip(NEXT) | instid1(VALU_DEP_1)
	.loc	1 40 19                         ; attention_fwd.py:40:19
	v_mul_f32_e32 v181, 0x3fb8aa3b, v180
	v_cmp_gt_f32_e64 s2, 0xc2fc0000, v181
	s_wait_alu depctr_va_sdst(0)
	s_delay_alu instid0(VALU_DEP_1) | instskip(NEXT) | instid1(VALU_DEP_1)
	v_cndmask_b32_e64 v181, 0, 0x42800000, s2
	v_fmac_f32_e32 v181, 0x3fb8aa3b, v180
	v_exp_f32_e32 v180, v183
	s_delay_alu instid0(TRANS32_DEP_1) | instskip(SKIP_1) | instid1(VALU_DEP_1)
	v_ldexp_f32 v206, v180, v182
	.loc	1 40 24                         ; attention_fwd.py:40:24
	v_sub_f32_e32 v180, v193, v132
	.loc	1 40 19                         ; attention_fwd.py:40:19
	v_mul_f32_e32 v182, 0x3fb8aa3b, v180
	s_delay_alu instid0(VALU_DEP_1) | instskip(SKIP_2) | instid1(VALU_DEP_1)
	v_cmp_gt_f32_e32 vcc_lo, 0xc2fc0000, v182
	s_wait_alu depctr_va_vcc(0)
	v_cndmask_b32_e64 v182, 0, 0x42800000, vcc_lo
	v_fmac_f32_e32 v182, 0x3fb8aa3b, v180
	.loc	1 40 24                         ; attention_fwd.py:40:24
	v_sub_f32_e32 v180, v194, v132
	s_delay_alu instid0(VALU_DEP_1) | instskip(NEXT) | instid1(VALU_DEP_1)
	.loc	1 40 19                         ; attention_fwd.py:40:19
	v_mul_f32_e32 v183, 0x3fb8aa3b, v180
	v_cmp_gt_f32_e64 s3, 0xc2fc0000, v183
	s_wait_alu depctr_va_sdst(0)
	s_delay_alu instid0(VALU_DEP_1) | instskip(NEXT) | instid1(VALU_DEP_1)
	v_cndmask_b32_e64 v183, 0, 0x42800000, s3
	v_fmac_f32_e32 v183, 0x3fb8aa3b, v180
	.loc	1 40 24                         ; attention_fwd.py:40:24
	v_sub_f32_e32 v180, v195, v132
	s_delay_alu instid0(VALU_DEP_1) | instskip(NEXT) | instid1(VALU_DEP_1)
	.loc	1 40 19                         ; attention_fwd.py:40:19
	v_mul_f32_e32 v184, 0x3fb8aa3b, v180
	v_cmp_gt_f32_e64 s4, 0xc2fc0000, v184
	s_wait_alu depctr_va_sdst(0)
	s_delay_alu instid0(VALU_DEP_1) | instskip(NEXT) | instid1(VALU_DEP_1)
	v_cndmask_b32_e64 v184, 0, 0x42800000, s4
	v_fmac_f32_e32 v184, 0x3fb8aa3b, v180
	v_exp_f32_e32 v180, v181
	v_cndmask_b32_e64 v181, 0, 0xffffffc0, s2
	s_delay_alu instid0(TRANS32_DEP_1) | instid1(VALU_DEP_1)
	v_ldexp_f32 v209, v180, v181
	.loc	1 40 24                         ; attention_fwd.py:40:24
	v_sub_f32_e32 v180, v196, v132
	s_delay_alu instid0(VALU_DEP_1) | instskip(NEXT) | instid1(VALU_DEP_1)
	.loc	1 40 19                         ; attention_fwd.py:40:19
	v_mul_f32_e32 v181, 0x3fb8aa3b, v180
	v_cmp_gt_f32_e64 s2, 0xc2fc0000, v181
	s_wait_alu depctr_va_sdst(0)
	s_delay_alu instid0(VALU_DEP_1) | instskip(NEXT) | instid1(VALU_DEP_1)
	v_cndmask_b32_e64 v181, 0, 0x42800000, s2
	v_fmac_f32_e32 v181, 0x3fb8aa3b, v180
	v_exp_f32_e32 v180, v182
	v_cndmask_b32_e64 v182, 0, 0xffffffc0, vcc_lo
	s_delay_alu instid0(TRANS32_DEP_1) | instid1(VALU_DEP_1)
	v_ldexp_f32 v213, v180, v182
	v_exp_f32_e32 v180, v183
	v_cndmask_b32_e64 v182, 0, 0xffffffc0, s3
	s_delay_alu instid0(TRANS32_DEP_1) | instid1(VALU_DEP_1)
	v_ldexp_f32 v212, v180, v182
	v_exp_f32_e32 v180, v184
	v_cndmask_b32_e64 v182, 0, 0xffffffc0, s4
	.loc	1 40 24                         ; attention_fwd.py:40:24
	v_sub_f32_e32 v178, v178, v132
	s_delay_alu instid0(TRANS32_DEP_1) | instid1(VALU_DEP_2)
	.loc	1 40 19                         ; attention_fwd.py:40:19
	v_ldexp_f32 v214, v180, v182
	.loc	1 40 24                         ; attention_fwd.py:40:24
	v_sub_f32_e32 v180, v197, v132
	s_delay_alu instid0(VALU_DEP_1) | instskip(NEXT) | instid1(VALU_DEP_1)
	.loc	1 40 19                         ; attention_fwd.py:40:19
	v_mul_f32_e32 v182, 0x3fb8aa3b, v180
	v_cmp_gt_f32_e32 vcc_lo, 0xc2fc0000, v182
	s_wait_alu depctr_va_vcc(0)
	v_cndmask_b32_e64 v182, 0, 0x42800000, vcc_lo
	s_delay_alu instid0(VALU_DEP_1)
	v_fmac_f32_e32 v182, 0x3fb8aa3b, v180
	v_exp_f32_e32 v180, v181
	v_cndmask_b32_e64 v181, 0, 0xffffffc0, s2
	s_delay_alu instid0(TRANS32_DEP_1) | instid1(VALU_DEP_1)
	v_ldexp_f32 v221, v180, v181
	v_mul_f32_e32 v180, 0x3fb8aa3b, v179
	.loc	1 40 24                         ; attention_fwd.py:40:24
	v_sub_f32_e32 v176, v176, v132
	s_delay_alu instid0(VALU_DEP_2) | instskip(SKIP_1) | instid1(VALU_DEP_1)
	.loc	1 40 19                         ; attention_fwd.py:40:19
	v_cmp_gt_f32_e64 s2, 0xc2fc0000, v180
	s_wait_alu depctr_va_sdst(0)
	v_cndmask_b32_e64 v180, 0, 0x42800000, s2
	s_delay_alu instid0(VALU_DEP_1) | instskip(SKIP_1) | instid1(VALU_DEP_1)
	v_fmac_f32_e32 v180, 0x3fb8aa3b, v179
	v_mul_f32_e32 v179, 0x3fb8aa3b, v175
	v_cmp_gt_f32_e64 s3, 0xc2fc0000, v179
	v_cndmask_b32_e64 v179, 0, 0xffffffc0, vcc_lo
	s_wait_alu depctr_va_sdst(0)
	s_delay_alu instid0(VALU_DEP_2) | instskip(NEXT) | instid1(VALU_DEP_1)
	v_cndmask_b32_e64 v181, 0, 0x42800000, s3
	v_fmac_f32_e32 v181, 0x3fb8aa3b, v175
	v_exp_f32_e32 v175, v182
	s_delay_alu instid0(TRANS32_DEP_1) | instskip(SKIP_1) | instid1(VALU_DEP_1)
	v_ldexp_f32 v175, v175, v179
	v_dual_mul_f32 v179, 0x3fb8aa3b, v178 :: v_dual_sub_f32 v174, v174, v132
	v_cmp_gt_f32_e32 vcc_lo, 0xc2fc0000, v179
	v_cndmask_b32_e64 v179, 0, 0xffffffc0, s2
	s_wait_alu depctr_va_vcc(0)
	v_cndmask_b32_e64 v182, 0, 0x42800000, vcc_lo
	s_delay_alu instid0(VALU_DEP_1) | instskip(SKIP_2) | instid1(TRANS32_DEP_1)
	v_fmac_f32_e32 v182, 0x3fb8aa3b, v178
	v_exp_f32_e32 v178, v180
	v_cndmask_b32_e64 v180, 0, 0xffffffc0, s3
	v_ldexp_f32 v179, v178, v179
	v_exp_f32_e32 v178, v181
	v_cndmask_b32_e64 v181, 0, 0xffffffc0, vcc_lo
	s_delay_alu instid0(TRANS32_DEP_1) | instskip(SKIP_1) | instid1(VALU_DEP_1)
	v_ldexp_f32 v180, v178, v180
	v_mul_f32_e32 v178, 0x3fb8aa3b, v177
	v_cmp_gt_f32_e64 s2, 0xc2fc0000, v178
	s_wait_alu depctr_va_sdst(0)
	s_delay_alu instid0(VALU_DEP_1) | instskip(NEXT) | instid1(VALU_DEP_1)
	v_cndmask_b32_e64 v178, 0, 0x42800000, s2
	v_fmac_f32_e32 v178, 0x3fb8aa3b, v177
	v_exp_f32_e32 v177, v182
	s_delay_alu instid0(TRANS32_DEP_1) | instskip(SKIP_1) | instid1(VALU_DEP_1)
	v_ldexp_f32 v184, v177, v181
	v_mul_f32_e32 v177, 0x3fb8aa3b, v176
	v_cmp_gt_f32_e32 vcc_lo, 0xc2fc0000, v177
	s_wait_alu depctr_va_vcc(0)
	v_cndmask_b32_e64 v177, 0, 0x42800000, vcc_lo
	s_delay_alu instid0(VALU_DEP_1) | instskip(NEXT) | instid1(VALU_DEP_1)
	v_dual_fmac_f32 v177, 0x3fb8aa3b, v176 :: v_dual_mul_f32 v176, 0x3fb8aa3b, v174
	v_cmp_gt_f32_e64 s3, 0xc2fc0000, v176
	s_wait_alu depctr_va_sdst(0)
	s_delay_alu instid0(VALU_DEP_1) | instskip(NEXT) | instid1(VALU_DEP_1)
	v_cndmask_b32_e64 v176, 0, 0x42800000, s3
	v_fmac_f32_e32 v176, 0x3fb8aa3b, v174
	v_exp_f32_e32 v174, v178
	v_cndmask_b32_e64 v178, 0, 0xffffffc0, s2
	s_delay_alu instid0(TRANS32_DEP_1) | instid1(VALU_DEP_1)
	v_ldexp_f32 v190, v174, v178
	v_mul_f32_e32 v174, 0x3fb8aa3b, v173
	.loc	1 40 24                         ; attention_fwd.py:40:24
	v_sub_f32_e32 v172, v172, v132
	s_delay_alu instid0(VALU_DEP_2) | instskip(SKIP_1) | instid1(VALU_DEP_1)
	.loc	1 40 19                         ; attention_fwd.py:40:19
	v_cmp_gt_f32_e64 s2, 0xc2fc0000, v174
	s_wait_alu depctr_va_sdst(0)
	v_cndmask_b32_e64 v174, 0, 0x42800000, s2
	s_delay_alu instid0(VALU_DEP_1)
	v_fmac_f32_e32 v174, 0x3fb8aa3b, v173
	v_exp_f32_e32 v173, v177
	v_cndmask_b32_e64 v177, 0, 0xffffffc0, vcc_lo
	s_delay_alu instid0(TRANS32_DEP_1) | instid1(VALU_DEP_1)
	v_ldexp_f32 v191, v173, v177
	v_exp_f32_e32 v173, v176
	v_cndmask_b32_e64 v176, 0, 0xffffffc0, s3
	s_delay_alu instid0(TRANS32_DEP_1) | instid1(VALU_DEP_1)
	v_ldexp_f32 v192, v173, v176
	v_mul_f32_e32 v173, 0x3fb8aa3b, v172
	s_delay_alu instid0(VALU_DEP_1) | instskip(SKIP_2) | instid1(VALU_DEP_1)
	v_cmp_gt_f32_e32 vcc_lo, 0xc2fc0000, v173
	s_wait_alu depctr_va_vcc(0)
	v_cndmask_b32_e64 v173, 0, 0x42800000, vcc_lo
	v_fmac_f32_e32 v173, 0x3fb8aa3b, v172
	v_exp_f32_e32 v172, v174
	v_cndmask_b32_e64 v174, 0, 0xffffffc0, s2
	s_delay_alu instid0(TRANS32_DEP_1) | instid1(VALU_DEP_1)
	v_ldexp_f32 v195, v172, v174
	v_mul_f32_e32 v172, 0x3fb8aa3b, v171
	s_delay_alu instid0(VALU_DEP_1) | instskip(SKIP_1) | instid1(VALU_DEP_1)
	v_cmp_gt_f32_e64 s2, 0xc2fc0000, v172
	s_wait_alu depctr_va_sdst(0)
	v_cndmask_b32_e64 v172, 0, 0x42800000, s2
	s_delay_alu instid0(VALU_DEP_1) | instskip(NEXT) | instid1(VALU_DEP_1)
	v_dual_fmac_f32 v172, 0x3fb8aa3b, v171 :: v_dual_mul_f32 v171, 0x3fb8aa3b, v170
	v_cmp_gt_f32_e64 s3, 0xc2fc0000, v171
	v_cndmask_b32_e64 v171, 0, 0xffffffc0, vcc_lo
	s_wait_alu depctr_va_sdst(0)
	s_delay_alu instid0(VALU_DEP_2) | instskip(NEXT) | instid1(VALU_DEP_1)
	v_cndmask_b32_e64 v174, 0, 0x42800000, s3
	v_fmac_f32_e32 v174, 0x3fb8aa3b, v170
	v_exp_f32_e32 v170, v173
	s_delay_alu instid0(TRANS32_DEP_1) | instskip(SKIP_1) | instid1(VALU_DEP_1)
	v_ldexp_f32 v170, v170, v171
	v_mul_f32_e32 v171, 0x3fb8aa3b, v169
	v_cmp_gt_f32_e32 vcc_lo, 0xc2fc0000, v171
	v_cndmask_b32_e64 v171, 0, 0xffffffc0, s2
	s_wait_alu depctr_va_vcc(0)
	v_cndmask_b32_e64 v173, 0, 0x42800000, vcc_lo
	s_delay_alu instid0(VALU_DEP_1) | instskip(SKIP_2) | instid1(TRANS32_DEP_1)
	v_fmac_f32_e32 v173, 0x3fb8aa3b, v169
	v_exp_f32_e32 v169, v172
	v_cndmask_b32_e64 v172, 0, 0xffffffc0, s3
	v_ldexp_f32 v171, v169, v171
	v_exp_f32_e32 v169, v174
	s_delay_alu instid0(TRANS32_DEP_1) | instskip(SKIP_2) | instid1(VALU_DEP_2)
	v_ldexp_f32 v174, v169, v172
	v_mul_f32_e32 v169, 0x3fb8aa3b, v131
	v_cndmask_b32_e64 v172, 0, 0xffffffc0, vcc_lo
	v_cmp_gt_f32_e64 s2, 0xc2fc0000, v169
	s_wait_alu depctr_va_sdst(0)
	s_delay_alu instid0(VALU_DEP_1) | instskip(NEXT) | instid1(VALU_DEP_1)
	v_cndmask_b32_e64 v169, 0, 0x42800000, s2
	v_fmac_f32_e32 v169, 0x3fb8aa3b, v131
	v_exp_f32_e32 v131, v173
	s_delay_alu instid0(TRANS32_DEP_1) | instskip(SKIP_1) | instid1(VALU_DEP_1)
	v_ldexp_f32 v176, v131, v172
	v_mul_f32_e32 v131, 0x3fb8aa3b, v75
	v_cmp_gt_f32_e32 vcc_lo, 0xc2fc0000, v131
	s_wait_alu depctr_va_vcc(0)
	v_cndmask_b32_e64 v131, 0, 0x42800000, vcc_lo
	s_delay_alu instid0(VALU_DEP_1) | instskip(SKIP_1) | instid1(VALU_DEP_1)
	v_fmac_f32_e32 v131, 0x3fb8aa3b, v75
	v_mul_f32_e32 v75, 0x3fb8aa3b, v74
	v_cmp_gt_f32_e64 s3, 0xc2fc0000, v75
	s_wait_alu depctr_va_sdst(0)
	s_delay_alu instid0(VALU_DEP_1) | instskip(NEXT) | instid1(VALU_DEP_1)
	v_cndmask_b32_e64 v75, 0, 0x42800000, s3
	v_fmac_f32_e32 v75, 0x3fb8aa3b, v74
	v_exp_f32_e32 v74, v169
	v_cndmask_b32_e64 v169, 0, 0xffffffc0, s2
	s_delay_alu instid0(TRANS32_DEP_1) | instid1(VALU_DEP_1)
	v_ldexp_f32 v183, v74, v169
	v_mul_f32_e32 v74, 0x3fb8aa3b, v73
	s_delay_alu instid0(VALU_DEP_1) | instskip(SKIP_1) | instid1(VALU_DEP_1)
	v_cmp_gt_f32_e64 s2, 0xc2fc0000, v74
	s_wait_alu depctr_va_sdst(0)
	v_cndmask_b32_e64 v74, 0, 0x42800000, s2
	s_delay_alu instid0(VALU_DEP_1)
	v_fmac_f32_e32 v74, 0x3fb8aa3b, v73
	v_exp_f32_e32 v73, v131
	v_cndmask_b32_e64 v131, 0, 0xffffffc0, vcc_lo
	.loc	1 45 20 is_stmt 1               ; attention_fwd.py:45:20
	s_and_not1_b32 vcc_lo, exec_lo, s49
	s_delay_alu instid0(TRANS32_DEP_1) | instid1(VALU_DEP_1)
	.loc	1 40 19                         ; attention_fwd.py:40:19
	v_ldexp_f32 v185, v73, v131
	v_exp_f32_e32 v73, v75
	v_cndmask_b32_e64 v75, 0, 0xffffffc0, s3
	s_delay_alu instid0(TRANS32_DEP_1) | instid1(VALU_DEP_1)
	v_ldexp_f32 v186, v73, v75
	v_exp_f32_e32 v73, v74
	v_cndmask_b32_e64 v74, 0, 0xffffffc0, s2
	s_delay_alu instid0(TRANS32_DEP_1) | instid1(VALU_DEP_1)
	v_ldexp_f32 v187, v73, v74
.Ltmp32:
	.loc	2 263 15                        ; standard.py:263:15 @[ standard.py:293:36 @[ attention_fwd.py:42:38 ] ]
	v_add_f32_e32 v73, v64, v69
	s_delay_alu instid0(VALU_DEP_1) | instskip(NEXT) | instid1(VALU_DEP_1)
	v_add_f32_e32 v73, v65, v73
	v_add_f32_e32 v73, v70, v73
	s_delay_alu instid0(VALU_DEP_1) | instskip(NEXT) | instid1(VALU_DEP_1)
	v_add_f32_e32 v73, v66, v73
	;; [unrolled: 3-line block ×15, first 2 shown]
	v_add_f32_e32 v131, v187, v73
	s_delay_alu instid0(VALU_DEP_1)
.Ltmp33:
	.loc	2 293 36                        ; standard.py:293:36 @[ attention_fwd.py:42:38 ]
	v_permlanex16_b32 v169, v131, s0, 0xfedcba98 op_sel:[1,0]
.Ltmp34:
	.loc	1 45 20                         ; attention_fwd.py:45:20
	s_wait_alu depctr_sa_sdst(0)
	s_cbranch_vccz .LBB0_355
; %bb.324:                              ;   in Loop: Header=BB0_259 Depth=1
	.loc	1 0 20 is_stmt 0                ; attention_fwd.py:0:20
	v_dual_mov_b32 v172, 0 :: v_dual_mov_b32 v173, 0
	.loc	1 45 20                         ; attention_fwd.py:45:20
	s_and_not1_b32 vcc_lo, exec_lo, s48
	s_wait_alu depctr_sa_sdst(0)
	s_cbranch_vccz .LBB0_356
.LBB0_325:                              ;   in Loop: Header=BB0_259 Depth=1
	s_and_not1_b32 vcc_lo, exec_lo, s50
	s_wait_alu depctr_sa_sdst(0)
	s_cbranch_vccz .LBB0_357
.LBB0_326:                              ;   in Loop: Header=BB0_259 Depth=1
	.loc	1 0 20                          ; attention_fwd.py:0:20
	v_dual_mov_b32 v177, 0 :: v_dual_mov_b32 v178, 0
	.loc	1 45 20                         ; attention_fwd.py:45:20
	s_and_not1_b32 vcc_lo, exec_lo, s51
	s_wait_alu depctr_sa_sdst(0)
	s_cbranch_vccz .LBB0_358
.LBB0_327:                              ;   in Loop: Header=BB0_259 Depth=1
	s_and_not1_b32 vcc_lo, exec_lo, s52
	s_wait_alu depctr_sa_sdst(0)
	s_cbranch_vccz .LBB0_359
.LBB0_328:                              ;   in Loop: Header=BB0_259 Depth=1
	.loc	1 0 20                          ; attention_fwd.py:0:20
	v_dual_mov_b32 v181, 0 :: v_dual_mov_b32 v182, 0
	.loc	1 45 20                         ; attention_fwd.py:45:20
	s_and_not1_b32 vcc_lo, exec_lo, s53
	s_wait_alu depctr_sa_sdst(0)
	s_cbranch_vccz .LBB0_360
.LBB0_329:                              ;   in Loop: Header=BB0_259 Depth=1
	s_and_not1_b32 vcc_lo, exec_lo, s54
	s_wait_alu depctr_sa_sdst(0)
	s_cbranch_vccz .LBB0_361
.LBB0_330:                              ;   in Loop: Header=BB0_259 Depth=1
	.loc	1 0 20                          ; attention_fwd.py:0:20
	v_dual_mov_b32 v188, 0 :: v_dual_mov_b32 v189, 0
	.loc	1 45 20                         ; attention_fwd.py:45:20
	s_and_not1_b32 vcc_lo, exec_lo, s55
	s_wait_alu depctr_sa_sdst(0)
	s_cbranch_vccz .LBB0_362
.LBB0_331:                              ;   in Loop: Header=BB0_259 Depth=1
	s_and_not1_b32 vcc_lo, exec_lo, s56
	s_wait_alu depctr_sa_sdst(0)
	s_cbranch_vccz .LBB0_363
.LBB0_332:                              ;   in Loop: Header=BB0_259 Depth=1
	.loc	1 0 20                          ; attention_fwd.py:0:20
	v_dual_mov_b32 v193, 0 :: v_dual_mov_b32 v194, 0
	.loc	1 45 20                         ; attention_fwd.py:45:20
	s_and_not1_b32 vcc_lo, exec_lo, s57
	s_wait_alu depctr_sa_sdst(0)
	s_cbranch_vccz .LBB0_364
.LBB0_333:                              ;   in Loop: Header=BB0_259 Depth=1
	s_and_not1_b32 vcc_lo, exec_lo, s58
	s_wait_alu depctr_sa_sdst(0)
	s_cbranch_vccz .LBB0_365
.LBB0_334:                              ;   in Loop: Header=BB0_259 Depth=1
	.loc	1 0 20                          ; attention_fwd.py:0:20
	v_dual_mov_b32 v196, 0 :: v_dual_mov_b32 v197, 0
	.loc	1 45 20                         ; attention_fwd.py:45:20
	s_and_not1_b32 vcc_lo, exec_lo, s59
	s_wait_alu depctr_sa_sdst(0)
	s_cbranch_vccz .LBB0_366
.LBB0_335:                              ;   in Loop: Header=BB0_259 Depth=1
	s_and_not1_b32 vcc_lo, exec_lo, s60
	s_wait_alu depctr_sa_sdst(0)
	s_cbranch_vccz .LBB0_367
.LBB0_336:                              ;   in Loop: Header=BB0_259 Depth=1
	.loc	1 0 20                          ; attention_fwd.py:0:20
	v_dual_mov_b32 v198, 0 :: v_dual_mov_b32 v199, 0
	.loc	1 45 20                         ; attention_fwd.py:45:20
	s_and_not1_b32 vcc_lo, exec_lo, s61
	s_wait_alu depctr_sa_sdst(0)
	s_cbranch_vccz .LBB0_368
.LBB0_337:                              ;   in Loop: Header=BB0_259 Depth=1
	s_and_not1_b32 vcc_lo, exec_lo, s62
	s_wait_alu depctr_sa_sdst(0)
	s_cbranch_vccz .LBB0_369
.LBB0_338:                              ;   in Loop: Header=BB0_259 Depth=1
	.loc	1 0 20                          ; attention_fwd.py:0:20
	v_dual_mov_b32 v201, 0 :: v_dual_mov_b32 v202, 0
	.loc	1 45 20                         ; attention_fwd.py:45:20
	s_and_not1_b32 vcc_lo, exec_lo, s63
	s_wait_alu depctr_sa_sdst(0)
	s_cbranch_vccz .LBB0_370
.LBB0_339:                              ;   in Loop: Header=BB0_259 Depth=1
	s_and_not1_b32 vcc_lo, exec_lo, s64
	s_wait_alu depctr_sa_sdst(0)
	s_cbranch_vccz .LBB0_371
.LBB0_340:                              ;   in Loop: Header=BB0_259 Depth=1
	.loc	1 0 20                          ; attention_fwd.py:0:20
	v_dual_mov_b32 v204, 0 :: v_dual_mov_b32 v205, 0
	.loc	1 45 20                         ; attention_fwd.py:45:20
	s_and_not1_b32 vcc_lo, exec_lo, s65
	s_wait_alu depctr_sa_sdst(0)
	s_cbranch_vccz .LBB0_372
.LBB0_341:                              ;   in Loop: Header=BB0_259 Depth=1
	s_and_not1_b32 vcc_lo, exec_lo, s66
	s_wait_alu depctr_sa_sdst(0)
	s_cbranch_vccz .LBB0_373
.LBB0_342:                              ;   in Loop: Header=BB0_259 Depth=1
	.loc	1 0 20                          ; attention_fwd.py:0:20
	v_dual_mov_b32 v207, 0 :: v_dual_mov_b32 v208, 0
	.loc	1 45 20                         ; attention_fwd.py:45:20
	s_and_not1_b32 vcc_lo, exec_lo, s67
	s_wait_alu depctr_sa_sdst(0)
	s_cbranch_vccz .LBB0_374
.LBB0_343:                              ;   in Loop: Header=BB0_259 Depth=1
	s_and_not1_b32 vcc_lo, exec_lo, s68
	s_wait_alu depctr_sa_sdst(0)
	s_cbranch_vccz .LBB0_375
.LBB0_344:                              ;   in Loop: Header=BB0_259 Depth=1
	.loc	1 0 20                          ; attention_fwd.py:0:20
	v_dual_mov_b32 v210, 0 :: v_dual_mov_b32 v211, 0
	.loc	1 45 20                         ; attention_fwd.py:45:20
	s_and_not1_b32 vcc_lo, exec_lo, s69
	s_wait_alu depctr_sa_sdst(0)
	s_cbranch_vccz .LBB0_376
.LBB0_345:                              ;   in Loop: Header=BB0_259 Depth=1
	s_and_not1_b32 vcc_lo, exec_lo, s70
	s_wait_alu depctr_sa_sdst(0)
	s_cbranch_vccz .LBB0_377
.LBB0_346:                              ;   in Loop: Header=BB0_259 Depth=1
	.loc	1 0 20                          ; attention_fwd.py:0:20
	v_dual_mov_b32 v215, 0 :: v_dual_mov_b32 v216, 0
	.loc	1 45 20                         ; attention_fwd.py:45:20
	s_and_not1_b32 vcc_lo, exec_lo, s71
	s_wait_alu depctr_sa_sdst(0)
	s_cbranch_vccz .LBB0_378
.LBB0_347:                              ;   in Loop: Header=BB0_259 Depth=1
	s_and_not1_b32 vcc_lo, exec_lo, s72
	s_wait_alu depctr_sa_sdst(0)
	s_cbranch_vccz .LBB0_379
.LBB0_348:                              ;   in Loop: Header=BB0_259 Depth=1
	.loc	1 0 20                          ; attention_fwd.py:0:20
	v_dual_mov_b32 v217, 0 :: v_dual_mov_b32 v218, 0
	.loc	1 45 20                         ; attention_fwd.py:45:20
	s_and_not1_b32 vcc_lo, exec_lo, s73
	s_wait_alu depctr_sa_sdst(0)
	s_cbranch_vccz .LBB0_380
.LBB0_349:                              ;   in Loop: Header=BB0_259 Depth=1
	s_and_not1_b32 vcc_lo, exec_lo, s74
	s_wait_alu depctr_sa_sdst(0)
	s_cbranch_vccz .LBB0_381
.LBB0_350:                              ;   in Loop: Header=BB0_259 Depth=1
	.loc	1 0 20                          ; attention_fwd.py:0:20
	v_dual_mov_b32 v219, 0 :: v_dual_mov_b32 v220, 0
	.loc	1 45 20                         ; attention_fwd.py:45:20
	s_and_not1_b32 vcc_lo, exec_lo, s75
	s_wait_alu depctr_sa_sdst(0)
	s_cbranch_vccz .LBB0_382
.LBB0_351:                              ;   in Loop: Header=BB0_259 Depth=1
	s_and_not1_b32 vcc_lo, exec_lo, s76
	s_wait_alu depctr_sa_sdst(0)
	s_cbranch_vccz .LBB0_383
.LBB0_352:                              ;   in Loop: Header=BB0_259 Depth=1
	.loc	1 0 20                          ; attention_fwd.py:0:20
	v_dual_mov_b32 v222, 0 :: v_dual_mov_b32 v223, 0
	.loc	1 45 20                         ; attention_fwd.py:45:20
	s_and_not1_b32 vcc_lo, exec_lo, s77
	s_wait_alu depctr_sa_sdst(0)
	s_cbranch_vccz .LBB0_384
.LBB0_353:                              ;   in Loop: Header=BB0_259 Depth=1
	s_and_not1_b32 vcc_lo, exec_lo, s78
	s_wait_alu depctr_sa_sdst(0)
	s_cbranch_vccz .LBB0_385
.LBB0_354:                              ;   in Loop: Header=BB0_259 Depth=1
	.loc	1 0 20                          ; attention_fwd.py:0:20
	v_mov_b32_e32 v224, 0
	.loc	1 45 20                         ; attention_fwd.py:45:20
	s_and_not1_b32 vcc_lo, exec_lo, s79
	s_wait_alu depctr_sa_sdst(0)
	s_cbranch_vccnz .LBB0_258
	s_branch .LBB0_386
.LBB0_355:                              ;   in Loop: Header=BB0_259 Depth=1
	.loc	1 0 20                          ; attention_fwd.py:0:20
	s_add_co_i32 s2, s43, s45
	s_wait_alu depctr_sa_sdst(0)
	s_ashr_i32 s3, s2, 31
	s_wait_alu depctr_sa_sdst(0)
	s_lshl_b64 s[2:3], s[2:3], 1
	s_wait_alu depctr_sa_sdst(0)
	v_add_co_u32 v73, vcc_lo, v87, s2
	s_wait_alu depctr_va_vcc(0)
	v_add_co_ci_u32_e64 v74, null, s3, v88, vcc_lo
	.loc	1 45 20                         ; attention_fwd.py:45:20
	global_load_u16 v168, v[73:74], off
	v_dual_mov_b32 v172, 0 :: v_dual_mov_b32 v173, 0
	s_and_not1_b32 vcc_lo, exec_lo, s48
	s_wait_alu depctr_sa_sdst(0)
	s_cbranch_vccnz .LBB0_325
.LBB0_356:                              ;   in Loop: Header=BB0_259 Depth=1
	.loc	1 44 39 is_stmt 1               ; attention_fwd.py:44:39
	s_add_co_i32 s2, vcc_hi, s45
	.loc	1 44 21 is_stmt 0               ; attention_fwd.py:44:21
	s_wait_alu depctr_sa_sdst(0)
	s_ashr_i32 s3, s2, 31
	.loc	1 44 51                         ; attention_fwd.py:44:51
	s_wait_alu depctr_sa_sdst(0)
	s_lshl_b64 s[2:3], s[2:3], 1
	s_wait_alu depctr_sa_sdst(0)
	v_add_co_u32 v73, vcc_lo, v87, s2
	s_wait_alu depctr_va_vcc(0)
	v_add_co_ci_u32_e64 v74, null, s3, v88, vcc_lo
	.loc	1 45 20 is_stmt 1               ; attention_fwd.py:45:20
	global_load_u16 v173, v[73:74], off
	s_and_not1_b32 vcc_lo, exec_lo, s50
	s_wait_alu depctr_sa_sdst(0)
	s_cbranch_vccnz .LBB0_326
.LBB0_357:                              ;   in Loop: Header=BB0_259 Depth=1
	.loc	1 44 39                         ; attention_fwd.py:44:39
	s_add_co_i32 s2, s103, s45
	.loc	1 44 21 is_stmt 0               ; attention_fwd.py:44:21
	s_wait_alu depctr_sa_sdst(0)
	s_ashr_i32 s3, s2, 31
	.loc	1 44 51                         ; attention_fwd.py:44:51
	s_wait_alu depctr_sa_sdst(0)
	s_lshl_b64 s[2:3], s[2:3], 1
	s_wait_alu depctr_sa_sdst(0)
	v_add_co_u32 v73, vcc_lo, v87, s2
	s_wait_alu depctr_va_vcc(0)
	v_add_co_ci_u32_e64 v74, null, s3, v88, vcc_lo
	.loc	1 45 20 is_stmt 1               ; attention_fwd.py:45:20
	global_load_u16 v172, v[73:74], off
	v_dual_mov_b32 v177, 0 :: v_dual_mov_b32 v178, 0
	s_and_not1_b32 vcc_lo, exec_lo, s51
	s_wait_alu depctr_sa_sdst(0)
	s_cbranch_vccnz .LBB0_327
.LBB0_358:                              ;   in Loop: Header=BB0_259 Depth=1
	.loc	1 44 39                         ; attention_fwd.py:44:39
	s_add_co_i32 s2, s101, s45
	.loc	1 44 21 is_stmt 0               ; attention_fwd.py:44:21
	s_wait_alu depctr_sa_sdst(0)
	s_ashr_i32 s3, s2, 31
	.loc	1 44 51                         ; attention_fwd.py:44:51
	s_wait_alu depctr_sa_sdst(0)
	s_lshl_b64 s[2:3], s[2:3], 1
	s_wait_alu depctr_sa_sdst(0)
	v_add_co_u32 v73, vcc_lo, v87, s2
	s_wait_alu depctr_va_vcc(0)
	v_add_co_ci_u32_e64 v74, null, s3, v88, vcc_lo
	.loc	1 45 20 is_stmt 1               ; attention_fwd.py:45:20
	global_load_u16 v178, v[73:74], off
	s_and_not1_b32 vcc_lo, exec_lo, s52
	s_wait_alu depctr_sa_sdst(0)
	s_cbranch_vccnz .LBB0_328
.LBB0_359:                              ;   in Loop: Header=BB0_259 Depth=1
	.loc	1 44 39                         ; attention_fwd.py:44:39
	s_add_co_i32 s2, s99, s45
	.loc	1 44 21 is_stmt 0               ; attention_fwd.py:44:21
	s_wait_alu depctr_sa_sdst(0)
	s_ashr_i32 s3, s2, 31
	.loc	1 44 51                         ; attention_fwd.py:44:51
	s_wait_alu depctr_sa_sdst(0)
	s_lshl_b64 s[2:3], s[2:3], 1
	s_wait_alu depctr_sa_sdst(0)
	v_add_co_u32 v73, vcc_lo, v87, s2
	s_wait_alu depctr_va_vcc(0)
	v_add_co_ci_u32_e64 v74, null, s3, v88, vcc_lo
	.loc	1 45 20 is_stmt 1               ; attention_fwd.py:45:20
	global_load_u16 v177, v[73:74], off
	v_dual_mov_b32 v181, 0 :: v_dual_mov_b32 v182, 0
	s_and_not1_b32 vcc_lo, exec_lo, s53
	s_wait_alu depctr_sa_sdst(0)
	s_cbranch_vccnz .LBB0_329
.LBB0_360:                              ;   in Loop: Header=BB0_259 Depth=1
	.loc	1 44 39                         ; attention_fwd.py:44:39
	s_add_co_i32 s2, s97, s45
	.loc	1 44 21 is_stmt 0               ; attention_fwd.py:44:21
	s_wait_alu depctr_sa_sdst(0)
	s_ashr_i32 s3, s2, 31
	.loc	1 44 51                         ; attention_fwd.py:44:51
	s_wait_alu depctr_sa_sdst(0)
	s_lshl_b64 s[2:3], s[2:3], 1
	s_wait_alu depctr_sa_sdst(0)
	v_add_co_u32 v73, vcc_lo, v87, s2
	s_wait_alu depctr_va_vcc(0)
	v_add_co_ci_u32_e64 v74, null, s3, v88, vcc_lo
	.loc	1 45 20 is_stmt 1               ; attention_fwd.py:45:20
	global_load_u16 v182, v[73:74], off
	s_and_not1_b32 vcc_lo, exec_lo, s54
	s_wait_alu depctr_sa_sdst(0)
	s_cbranch_vccnz .LBB0_330
.LBB0_361:                              ;   in Loop: Header=BB0_259 Depth=1
	.loc	1 44 39                         ; attention_fwd.py:44:39
	s_add_co_i32 s2, s95, s45
	.loc	1 44 21 is_stmt 0               ; attention_fwd.py:44:21
	s_wait_alu depctr_sa_sdst(0)
	s_ashr_i32 s3, s2, 31
	.loc	1 44 51                         ; attention_fwd.py:44:51
	s_wait_alu depctr_sa_sdst(0)
	s_lshl_b64 s[2:3], s[2:3], 1
	s_wait_alu depctr_sa_sdst(0)
	v_add_co_u32 v73, vcc_lo, v87, s2
	s_wait_alu depctr_va_vcc(0)
	v_add_co_ci_u32_e64 v74, null, s3, v88, vcc_lo
	.loc	1 45 20 is_stmt 1               ; attention_fwd.py:45:20
	global_load_u16 v181, v[73:74], off
	v_dual_mov_b32 v188, 0 :: v_dual_mov_b32 v189, 0
	s_and_not1_b32 vcc_lo, exec_lo, s55
	s_wait_alu depctr_sa_sdst(0)
	s_cbranch_vccnz .LBB0_331
.LBB0_362:                              ;   in Loop: Header=BB0_259 Depth=1
	.loc	1 44 39                         ; attention_fwd.py:44:39
	s_add_co_i32 s2, s93, s45
	.loc	1 44 21 is_stmt 0               ; attention_fwd.py:44:21
	s_wait_alu depctr_sa_sdst(0)
	s_ashr_i32 s3, s2, 31
	.loc	1 44 51                         ; attention_fwd.py:44:51
	s_wait_alu depctr_sa_sdst(0)
	s_lshl_b64 s[2:3], s[2:3], 1
	s_wait_alu depctr_sa_sdst(0)
	v_add_co_u32 v73, vcc_lo, v87, s2
	s_wait_alu depctr_va_vcc(0)
	v_add_co_ci_u32_e64 v74, null, s3, v88, vcc_lo
	.loc	1 45 20 is_stmt 1               ; attention_fwd.py:45:20
	global_load_u16 v189, v[73:74], off
	s_and_not1_b32 vcc_lo, exec_lo, s56
	s_wait_alu depctr_sa_sdst(0)
	s_cbranch_vccnz .LBB0_332
.LBB0_363:                              ;   in Loop: Header=BB0_259 Depth=1
	.loc	1 44 39                         ; attention_fwd.py:44:39
	s_add_co_i32 s2, s91, s45
	.loc	1 44 21 is_stmt 0               ; attention_fwd.py:44:21
	s_wait_alu depctr_sa_sdst(0)
	s_ashr_i32 s3, s2, 31
	.loc	1 44 51                         ; attention_fwd.py:44:51
	s_wait_alu depctr_sa_sdst(0)
	s_lshl_b64 s[2:3], s[2:3], 1
	s_wait_alu depctr_sa_sdst(0)
	v_add_co_u32 v73, vcc_lo, v87, s2
	s_wait_alu depctr_va_vcc(0)
	v_add_co_ci_u32_e64 v74, null, s3, v88, vcc_lo
	.loc	1 45 20 is_stmt 1               ; attention_fwd.py:45:20
	global_load_u16 v188, v[73:74], off
	v_dual_mov_b32 v193, 0 :: v_dual_mov_b32 v194, 0
	s_and_not1_b32 vcc_lo, exec_lo, s57
	s_wait_alu depctr_sa_sdst(0)
	s_cbranch_vccnz .LBB0_333
.LBB0_364:                              ;   in Loop: Header=BB0_259 Depth=1
	.loc	1 44 39                         ; attention_fwd.py:44:39
	s_add_co_i32 s2, s89, s45
	.loc	1 44 21 is_stmt 0               ; attention_fwd.py:44:21
	s_wait_alu depctr_sa_sdst(0)
	s_ashr_i32 s3, s2, 31
	.loc	1 44 51                         ; attention_fwd.py:44:51
	s_wait_alu depctr_sa_sdst(0)
	s_lshl_b64 s[2:3], s[2:3], 1
	s_wait_alu depctr_sa_sdst(0)
	v_add_co_u32 v73, vcc_lo, v87, s2
	s_wait_alu depctr_va_vcc(0)
	v_add_co_ci_u32_e64 v74, null, s3, v88, vcc_lo
	.loc	1 45 20 is_stmt 1               ; attention_fwd.py:45:20
	global_load_u16 v194, v[73:74], off
	s_and_not1_b32 vcc_lo, exec_lo, s58
	s_wait_alu depctr_sa_sdst(0)
	s_cbranch_vccnz .LBB0_334
.LBB0_365:                              ;   in Loop: Header=BB0_259 Depth=1
	.loc	1 44 39                         ; attention_fwd.py:44:39
	s_add_co_i32 s2, s87, s45
	.loc	1 44 21 is_stmt 0               ; attention_fwd.py:44:21
	s_wait_alu depctr_sa_sdst(0)
	s_ashr_i32 s3, s2, 31
	.loc	1 44 51                         ; attention_fwd.py:44:51
	s_wait_alu depctr_sa_sdst(0)
	s_lshl_b64 s[2:3], s[2:3], 1
	s_wait_alu depctr_sa_sdst(0)
	v_add_co_u32 v73, vcc_lo, v87, s2
	s_wait_alu depctr_va_vcc(0)
	v_add_co_ci_u32_e64 v74, null, s3, v88, vcc_lo
	.loc	1 45 20 is_stmt 1               ; attention_fwd.py:45:20
	global_load_u16 v193, v[73:74], off
	v_dual_mov_b32 v196, 0 :: v_dual_mov_b32 v197, 0
	s_and_not1_b32 vcc_lo, exec_lo, s59
	s_wait_alu depctr_sa_sdst(0)
	s_cbranch_vccnz .LBB0_335
.LBB0_366:                              ;   in Loop: Header=BB0_259 Depth=1
	.loc	1 44 39                         ; attention_fwd.py:44:39
	s_add_co_i32 s2, s85, s45
	.loc	1 44 21 is_stmt 0               ; attention_fwd.py:44:21
	s_wait_alu depctr_sa_sdst(0)
	s_ashr_i32 s3, s2, 31
	.loc	1 44 51                         ; attention_fwd.py:44:51
	s_wait_alu depctr_sa_sdst(0)
	s_lshl_b64 s[2:3], s[2:3], 1
	s_wait_alu depctr_sa_sdst(0)
	v_add_co_u32 v73, vcc_lo, v87, s2
	s_wait_alu depctr_va_vcc(0)
	v_add_co_ci_u32_e64 v74, null, s3, v88, vcc_lo
	.loc	1 45 20 is_stmt 1               ; attention_fwd.py:45:20
	global_load_u16 v197, v[73:74], off
	s_and_not1_b32 vcc_lo, exec_lo, s60
	s_wait_alu depctr_sa_sdst(0)
	s_cbranch_vccnz .LBB0_336
.LBB0_367:                              ;   in Loop: Header=BB0_259 Depth=1
	.loc	1 44 39                         ; attention_fwd.py:44:39
	s_add_co_i32 s2, s83, s45
	.loc	1 44 21 is_stmt 0               ; attention_fwd.py:44:21
	s_wait_alu depctr_sa_sdst(0)
	s_ashr_i32 s3, s2, 31
	.loc	1 44 51                         ; attention_fwd.py:44:51
	s_wait_alu depctr_sa_sdst(0)
	s_lshl_b64 s[2:3], s[2:3], 1
	s_wait_alu depctr_sa_sdst(0)
	v_add_co_u32 v73, vcc_lo, v87, s2
	s_wait_alu depctr_va_vcc(0)
	v_add_co_ci_u32_e64 v74, null, s3, v88, vcc_lo
	.loc	1 45 20 is_stmt 1               ; attention_fwd.py:45:20
	global_load_u16 v196, v[73:74], off
	v_dual_mov_b32 v198, 0 :: v_dual_mov_b32 v199, 0
	s_and_not1_b32 vcc_lo, exec_lo, s61
	s_wait_alu depctr_sa_sdst(0)
	s_cbranch_vccnz .LBB0_337
.LBB0_368:                              ;   in Loop: Header=BB0_259 Depth=1
	.loc	1 44 39                         ; attention_fwd.py:44:39
	s_add_co_i32 s2, s81, s45
	.loc	1 44 21 is_stmt 0               ; attention_fwd.py:44:21
	s_wait_alu depctr_sa_sdst(0)
	s_ashr_i32 s3, s2, 31
	.loc	1 44 51                         ; attention_fwd.py:44:51
	s_wait_alu depctr_sa_sdst(0)
	s_lshl_b64 s[2:3], s[2:3], 1
	s_wait_alu depctr_sa_sdst(0)
	v_add_co_u32 v73, vcc_lo, v87, s2
	s_wait_alu depctr_va_vcc(0)
	v_add_co_ci_u32_e64 v74, null, s3, v88, vcc_lo
	.loc	1 45 20 is_stmt 1               ; attention_fwd.py:45:20
	global_load_u16 v199, v[73:74], off
	s_and_not1_b32 vcc_lo, exec_lo, s62
	s_wait_alu depctr_sa_sdst(0)
	s_cbranch_vccnz .LBB0_338
.LBB0_369:                              ;   in Loop: Header=BB0_259 Depth=1
	.loc	1 44 39                         ; attention_fwd.py:44:39
	v_readlane_b32 s2, v250, 5
	s_add_co_i32 s2, s2, s45
	.loc	1 44 21 is_stmt 0               ; attention_fwd.py:44:21
	s_wait_alu depctr_sa_sdst(0)
	s_ashr_i32 s3, s2, 31
	.loc	1 44 51                         ; attention_fwd.py:44:51
	s_wait_alu depctr_sa_sdst(0)
	s_lshl_b64 s[2:3], s[2:3], 1
	s_wait_alu depctr_sa_sdst(0)
	v_add_co_u32 v73, vcc_lo, v87, s2
	s_wait_alu depctr_va_vcc(0)
	v_add_co_ci_u32_e64 v74, null, s3, v88, vcc_lo
	.loc	1 45 20 is_stmt 1               ; attention_fwd.py:45:20
	global_load_u16 v198, v[73:74], off
	v_dual_mov_b32 v201, 0 :: v_dual_mov_b32 v202, 0
	s_and_not1_b32 vcc_lo, exec_lo, s63
	s_wait_alu depctr_sa_sdst(0)
	s_cbranch_vccnz .LBB0_339
.LBB0_370:                              ;   in Loop: Header=BB0_259 Depth=1
	.loc	1 44 39                         ; attention_fwd.py:44:39
	v_readlane_b32 s2, v250, 3
	s_add_co_i32 s2, s2, s45
	.loc	1 44 21 is_stmt 0               ; attention_fwd.py:44:21
	s_wait_alu depctr_sa_sdst(0)
	s_ashr_i32 s3, s2, 31
	.loc	1 44 51                         ; attention_fwd.py:44:51
	s_wait_alu depctr_sa_sdst(0)
	s_lshl_b64 s[2:3], s[2:3], 1
	s_wait_alu depctr_sa_sdst(0)
	v_add_co_u32 v73, vcc_lo, v87, s2
	s_wait_alu depctr_va_vcc(0)
	v_add_co_ci_u32_e64 v74, null, s3, v88, vcc_lo
	.loc	1 45 20 is_stmt 1               ; attention_fwd.py:45:20
	global_load_u16 v202, v[73:74], off
	s_and_not1_b32 vcc_lo, exec_lo, s64
	s_wait_alu depctr_sa_sdst(0)
	s_cbranch_vccnz .LBB0_340
.LBB0_371:                              ;   in Loop: Header=BB0_259 Depth=1
	.loc	1 44 39                         ; attention_fwd.py:44:39
	v_readlane_b32 s2, v250, 1
	s_add_co_i32 s2, s2, s45
	.loc	1 44 21 is_stmt 0               ; attention_fwd.py:44:21
	s_wait_alu depctr_sa_sdst(0)
	s_ashr_i32 s3, s2, 31
	.loc	1 44 51                         ; attention_fwd.py:44:51
	s_wait_alu depctr_sa_sdst(0)
	s_lshl_b64 s[2:3], s[2:3], 1
	s_wait_alu depctr_sa_sdst(0)
	v_add_co_u32 v73, vcc_lo, v87, s2
	s_wait_alu depctr_va_vcc(0)
	v_add_co_ci_u32_e64 v74, null, s3, v88, vcc_lo
	.loc	1 45 20 is_stmt 1               ; attention_fwd.py:45:20
	global_load_u16 v201, v[73:74], off
	v_dual_mov_b32 v204, 0 :: v_dual_mov_b32 v205, 0
	s_and_not1_b32 vcc_lo, exec_lo, s65
	s_wait_alu depctr_sa_sdst(0)
	s_cbranch_vccnz .LBB0_341
.LBB0_372:                              ;   in Loop: Header=BB0_259 Depth=1
	.loc	1 44 39                         ; attention_fwd.py:44:39
	v_readlane_b32 s2, v251, 31
	s_add_co_i32 s2, s2, s45
	.loc	1 44 21 is_stmt 0               ; attention_fwd.py:44:21
	s_wait_alu depctr_sa_sdst(0)
	s_ashr_i32 s3, s2, 31
	.loc	1 44 51                         ; attention_fwd.py:44:51
	s_wait_alu depctr_sa_sdst(0)
	s_lshl_b64 s[2:3], s[2:3], 1
	s_wait_alu depctr_sa_sdst(0)
	v_add_co_u32 v73, vcc_lo, v87, s2
	s_wait_alu depctr_va_vcc(0)
	v_add_co_ci_u32_e64 v74, null, s3, v88, vcc_lo
	.loc	1 45 20 is_stmt 1               ; attention_fwd.py:45:20
	global_load_u16 v205, v[73:74], off
	s_and_not1_b32 vcc_lo, exec_lo, s66
	s_wait_alu depctr_sa_sdst(0)
	s_cbranch_vccnz .LBB0_342
.LBB0_373:                              ;   in Loop: Header=BB0_259 Depth=1
	.loc	1 44 39                         ; attention_fwd.py:44:39
	v_readlane_b32 s2, v251, 29
	s_add_co_i32 s2, s2, s45
	.loc	1 44 21 is_stmt 0               ; attention_fwd.py:44:21
	s_wait_alu depctr_sa_sdst(0)
	s_ashr_i32 s3, s2, 31
	.loc	1 44 51                         ; attention_fwd.py:44:51
	s_wait_alu depctr_sa_sdst(0)
	s_lshl_b64 s[2:3], s[2:3], 1
	s_wait_alu depctr_sa_sdst(0)
	v_add_co_u32 v73, vcc_lo, v87, s2
	s_wait_alu depctr_va_vcc(0)
	v_add_co_ci_u32_e64 v74, null, s3, v88, vcc_lo
	.loc	1 45 20 is_stmt 1               ; attention_fwd.py:45:20
	global_load_u16 v204, v[73:74], off
	v_dual_mov_b32 v207, 0 :: v_dual_mov_b32 v208, 0
	s_and_not1_b32 vcc_lo, exec_lo, s67
	s_wait_alu depctr_sa_sdst(0)
	s_cbranch_vccnz .LBB0_343
.LBB0_374:                              ;   in Loop: Header=BB0_259 Depth=1
	.loc	1 44 39                         ; attention_fwd.py:44:39
	v_readlane_b32 s2, v251, 27
	s_add_co_i32 s2, s2, s45
	.loc	1 44 21 is_stmt 0               ; attention_fwd.py:44:21
	s_wait_alu depctr_sa_sdst(0)
	s_ashr_i32 s3, s2, 31
	.loc	1 44 51                         ; attention_fwd.py:44:51
	s_wait_alu depctr_sa_sdst(0)
	s_lshl_b64 s[2:3], s[2:3], 1
	s_wait_alu depctr_sa_sdst(0)
	v_add_co_u32 v73, vcc_lo, v87, s2
	s_wait_alu depctr_va_vcc(0)
	v_add_co_ci_u32_e64 v74, null, s3, v88, vcc_lo
	.loc	1 45 20 is_stmt 1               ; attention_fwd.py:45:20
	global_load_u16 v208, v[73:74], off
	s_and_not1_b32 vcc_lo, exec_lo, s68
	s_wait_alu depctr_sa_sdst(0)
	s_cbranch_vccnz .LBB0_344
.LBB0_375:                              ;   in Loop: Header=BB0_259 Depth=1
	.loc	1 44 39                         ; attention_fwd.py:44:39
	v_readlane_b32 s2, v251, 25
	s_add_co_i32 s2, s2, s45
	.loc	1 44 21 is_stmt 0               ; attention_fwd.py:44:21
	s_wait_alu depctr_sa_sdst(0)
	s_ashr_i32 s3, s2, 31
	.loc	1 44 51                         ; attention_fwd.py:44:51
	s_wait_alu depctr_sa_sdst(0)
	s_lshl_b64 s[2:3], s[2:3], 1
	s_wait_alu depctr_sa_sdst(0)
	v_add_co_u32 v73, vcc_lo, v87, s2
	s_wait_alu depctr_va_vcc(0)
	v_add_co_ci_u32_e64 v74, null, s3, v88, vcc_lo
	.loc	1 45 20 is_stmt 1               ; attention_fwd.py:45:20
	global_load_u16 v207, v[73:74], off
	v_dual_mov_b32 v210, 0 :: v_dual_mov_b32 v211, 0
	s_and_not1_b32 vcc_lo, exec_lo, s69
	s_wait_alu depctr_sa_sdst(0)
	s_cbranch_vccnz .LBB0_345
.LBB0_376:                              ;   in Loop: Header=BB0_259 Depth=1
	.loc	1 44 39                         ; attention_fwd.py:44:39
	v_readlane_b32 s2, v251, 23
	s_add_co_i32 s2, s2, s45
	.loc	1 44 21 is_stmt 0               ; attention_fwd.py:44:21
	s_wait_alu depctr_sa_sdst(0)
	s_ashr_i32 s3, s2, 31
	.loc	1 44 51                         ; attention_fwd.py:44:51
	s_wait_alu depctr_sa_sdst(0)
	s_lshl_b64 s[2:3], s[2:3], 1
	s_wait_alu depctr_sa_sdst(0)
	v_add_co_u32 v73, vcc_lo, v87, s2
	s_wait_alu depctr_va_vcc(0)
	v_add_co_ci_u32_e64 v74, null, s3, v88, vcc_lo
	.loc	1 45 20 is_stmt 1               ; attention_fwd.py:45:20
	global_load_u16 v211, v[73:74], off
	s_and_not1_b32 vcc_lo, exec_lo, s70
	s_wait_alu depctr_sa_sdst(0)
	s_cbranch_vccnz .LBB0_346
.LBB0_377:                              ;   in Loop: Header=BB0_259 Depth=1
	.loc	1 44 39                         ; attention_fwd.py:44:39
	v_readlane_b32 s2, v251, 21
	s_add_co_i32 s2, s2, s45
	.loc	1 44 21 is_stmt 0               ; attention_fwd.py:44:21
	s_wait_alu depctr_sa_sdst(0)
	s_ashr_i32 s3, s2, 31
	.loc	1 44 51                         ; attention_fwd.py:44:51
	s_wait_alu depctr_sa_sdst(0)
	s_lshl_b64 s[2:3], s[2:3], 1
	s_wait_alu depctr_sa_sdst(0)
	v_add_co_u32 v73, vcc_lo, v87, s2
	s_wait_alu depctr_va_vcc(0)
	v_add_co_ci_u32_e64 v74, null, s3, v88, vcc_lo
	.loc	1 45 20 is_stmt 1               ; attention_fwd.py:45:20
	global_load_u16 v210, v[73:74], off
	v_dual_mov_b32 v215, 0 :: v_dual_mov_b32 v216, 0
	s_and_not1_b32 vcc_lo, exec_lo, s71
	s_wait_alu depctr_sa_sdst(0)
	s_cbranch_vccnz .LBB0_347
.LBB0_378:                              ;   in Loop: Header=BB0_259 Depth=1
	.loc	1 44 39                         ; attention_fwd.py:44:39
	v_readlane_b32 s2, v251, 19
	s_add_co_i32 s2, s2, s45
	.loc	1 44 21 is_stmt 0               ; attention_fwd.py:44:21
	s_wait_alu depctr_sa_sdst(0)
	s_ashr_i32 s3, s2, 31
	.loc	1 44 51                         ; attention_fwd.py:44:51
	s_wait_alu depctr_sa_sdst(0)
	s_lshl_b64 s[2:3], s[2:3], 1
	s_wait_alu depctr_sa_sdst(0)
	v_add_co_u32 v73, vcc_lo, v87, s2
	s_wait_alu depctr_va_vcc(0)
	v_add_co_ci_u32_e64 v74, null, s3, v88, vcc_lo
	.loc	1 45 20 is_stmt 1               ; attention_fwd.py:45:20
	global_load_u16 v216, v[73:74], off
	s_and_not1_b32 vcc_lo, exec_lo, s72
	s_wait_alu depctr_sa_sdst(0)
	s_cbranch_vccnz .LBB0_348
.LBB0_379:                              ;   in Loop: Header=BB0_259 Depth=1
	.loc	1 44 39                         ; attention_fwd.py:44:39
	v_readlane_b32 s2, v251, 17
	s_add_co_i32 s2, s2, s45
	.loc	1 44 21 is_stmt 0               ; attention_fwd.py:44:21
	s_wait_alu depctr_sa_sdst(0)
	s_ashr_i32 s3, s2, 31
	.loc	1 44 51                         ; attention_fwd.py:44:51
	s_wait_alu depctr_sa_sdst(0)
	s_lshl_b64 s[2:3], s[2:3], 1
	s_wait_alu depctr_sa_sdst(0)
	v_add_co_u32 v73, vcc_lo, v87, s2
	s_wait_alu depctr_va_vcc(0)
	v_add_co_ci_u32_e64 v74, null, s3, v88, vcc_lo
	.loc	1 45 20 is_stmt 1               ; attention_fwd.py:45:20
	global_load_u16 v215, v[73:74], off
	v_dual_mov_b32 v217, 0 :: v_dual_mov_b32 v218, 0
	s_and_not1_b32 vcc_lo, exec_lo, s73
	s_wait_alu depctr_sa_sdst(0)
	s_cbranch_vccnz .LBB0_349
.LBB0_380:                              ;   in Loop: Header=BB0_259 Depth=1
	.loc	1 44 39                         ; attention_fwd.py:44:39
	v_readlane_b32 s2, v251, 15
	s_add_co_i32 s2, s2, s45
	.loc	1 44 21 is_stmt 0               ; attention_fwd.py:44:21
	s_wait_alu depctr_sa_sdst(0)
	s_ashr_i32 s3, s2, 31
	.loc	1 44 51                         ; attention_fwd.py:44:51
	s_wait_alu depctr_sa_sdst(0)
	s_lshl_b64 s[2:3], s[2:3], 1
	s_wait_alu depctr_sa_sdst(0)
	v_add_co_u32 v73, vcc_lo, v87, s2
	s_wait_alu depctr_va_vcc(0)
	v_add_co_ci_u32_e64 v74, null, s3, v88, vcc_lo
	.loc	1 45 20 is_stmt 1               ; attention_fwd.py:45:20
	global_load_u16 v218, v[73:74], off
	s_and_not1_b32 vcc_lo, exec_lo, s74
	s_wait_alu depctr_sa_sdst(0)
	s_cbranch_vccnz .LBB0_350
.LBB0_381:                              ;   in Loop: Header=BB0_259 Depth=1
	.loc	1 44 39                         ; attention_fwd.py:44:39
	v_readlane_b32 s2, v251, 13
	s_add_co_i32 s2, s2, s45
	.loc	1 44 21 is_stmt 0               ; attention_fwd.py:44:21
	s_wait_alu depctr_sa_sdst(0)
	s_ashr_i32 s3, s2, 31
	.loc	1 44 51                         ; attention_fwd.py:44:51
	s_wait_alu depctr_sa_sdst(0)
	s_lshl_b64 s[2:3], s[2:3], 1
	s_wait_alu depctr_sa_sdst(0)
	v_add_co_u32 v73, vcc_lo, v87, s2
	s_wait_alu depctr_va_vcc(0)
	v_add_co_ci_u32_e64 v74, null, s3, v88, vcc_lo
	.loc	1 45 20 is_stmt 1               ; attention_fwd.py:45:20
	global_load_u16 v217, v[73:74], off
	v_dual_mov_b32 v219, 0 :: v_dual_mov_b32 v220, 0
	s_and_not1_b32 vcc_lo, exec_lo, s75
	s_wait_alu depctr_sa_sdst(0)
	s_cbranch_vccnz .LBB0_351
.LBB0_382:                              ;   in Loop: Header=BB0_259 Depth=1
	.loc	1 44 39                         ; attention_fwd.py:44:39
	v_readlane_b32 s2, v251, 11
	s_add_co_i32 s2, s2, s45
	.loc	1 44 21 is_stmt 0               ; attention_fwd.py:44:21
	s_wait_alu depctr_sa_sdst(0)
	s_ashr_i32 s3, s2, 31
	.loc	1 44 51                         ; attention_fwd.py:44:51
	s_wait_alu depctr_sa_sdst(0)
	s_lshl_b64 s[2:3], s[2:3], 1
	s_wait_alu depctr_sa_sdst(0)
	v_add_co_u32 v73, vcc_lo, v87, s2
	s_wait_alu depctr_va_vcc(0)
	v_add_co_ci_u32_e64 v74, null, s3, v88, vcc_lo
	.loc	1 45 20 is_stmt 1               ; attention_fwd.py:45:20
	global_load_u16 v220, v[73:74], off
	s_and_not1_b32 vcc_lo, exec_lo, s76
	s_wait_alu depctr_sa_sdst(0)
	s_cbranch_vccnz .LBB0_352
.LBB0_383:                              ;   in Loop: Header=BB0_259 Depth=1
	.loc	1 44 39                         ; attention_fwd.py:44:39
	v_readlane_b32 s2, v251, 9
	s_add_co_i32 s2, s2, s45
	.loc	1 44 21 is_stmt 0               ; attention_fwd.py:44:21
	s_wait_alu depctr_sa_sdst(0)
	s_ashr_i32 s3, s2, 31
	.loc	1 44 51                         ; attention_fwd.py:44:51
	s_wait_alu depctr_sa_sdst(0)
	s_lshl_b64 s[2:3], s[2:3], 1
	s_wait_alu depctr_sa_sdst(0)
	v_add_co_u32 v73, vcc_lo, v87, s2
	s_wait_alu depctr_va_vcc(0)
	v_add_co_ci_u32_e64 v74, null, s3, v88, vcc_lo
	.loc	1 45 20 is_stmt 1               ; attention_fwd.py:45:20
	global_load_u16 v219, v[73:74], off
	v_dual_mov_b32 v222, 0 :: v_dual_mov_b32 v223, 0
	s_and_not1_b32 vcc_lo, exec_lo, s77
	s_wait_alu depctr_sa_sdst(0)
	s_cbranch_vccnz .LBB0_353
.LBB0_384:                              ;   in Loop: Header=BB0_259 Depth=1
	.loc	1 44 39                         ; attention_fwd.py:44:39
	v_readlane_b32 s2, v251, 7
	s_add_co_i32 s2, s2, s45
	.loc	1 44 21 is_stmt 0               ; attention_fwd.py:44:21
	s_wait_alu depctr_sa_sdst(0)
	s_ashr_i32 s3, s2, 31
	.loc	1 44 51                         ; attention_fwd.py:44:51
	s_wait_alu depctr_sa_sdst(0)
	s_lshl_b64 s[2:3], s[2:3], 1
	s_wait_alu depctr_sa_sdst(0)
	v_add_co_u32 v73, vcc_lo, v87, s2
	s_wait_alu depctr_va_vcc(0)
	v_add_co_ci_u32_e64 v74, null, s3, v88, vcc_lo
	.loc	1 45 20 is_stmt 1               ; attention_fwd.py:45:20
	global_load_u16 v223, v[73:74], off
	s_and_not1_b32 vcc_lo, exec_lo, s78
	s_wait_alu depctr_sa_sdst(0)
	s_cbranch_vccnz .LBB0_354
.LBB0_385:                              ;   in Loop: Header=BB0_259 Depth=1
	.loc	1 44 39                         ; attention_fwd.py:44:39
	v_readlane_b32 s2, v251, 5
	s_add_co_i32 s2, s2, s45
	.loc	1 44 21 is_stmt 0               ; attention_fwd.py:44:21
	s_wait_alu depctr_sa_sdst(0)
	s_ashr_i32 s3, s2, 31
	.loc	1 44 51                         ; attention_fwd.py:44:51
	s_wait_alu depctr_sa_sdst(0)
	s_lshl_b64 s[2:3], s[2:3], 1
	s_wait_alu depctr_sa_sdst(0)
	v_add_co_u32 v73, vcc_lo, v87, s2
	s_wait_alu depctr_va_vcc(0)
	v_add_co_ci_u32_e64 v74, null, s3, v88, vcc_lo
	.loc	1 45 20 is_stmt 1               ; attention_fwd.py:45:20
	global_load_u16 v222, v[73:74], off
	v_mov_b32_e32 v224, 0
	s_and_not1_b32 vcc_lo, exec_lo, s79
	s_wait_alu depctr_sa_sdst(0)
	s_cbranch_vccnz .LBB0_258
.LBB0_386:                              ;   in Loop: Header=BB0_259 Depth=1
	.loc	1 44 21                         ; attention_fwd.py:44:21
	v_readlane_b32 s2, v251, 3
	s_add_co_i32 s2, s2, s45
	s_wait_alu depctr_sa_sdst(0)
	s_ashr_i32 s3, s2, 31
	.loc	1 44 51 is_stmt 0               ; attention_fwd.py:44:51
	s_wait_alu depctr_sa_sdst(0)
	s_lshl_b64 s[2:3], s[2:3], 1
	s_wait_alu depctr_sa_sdst(0)
	v_add_co_u32 v73, vcc_lo, v87, s2
	s_wait_alu depctr_va_vcc(0)
	v_add_co_ci_u32_e64 v74, null, s3, v88, vcc_lo
	.loc	1 45 20 is_stmt 1               ; attention_fwd.py:45:20
	global_load_u16 v224, v[73:74], off
	s_branch .LBB0_258
.LBB0_387:                              ; %Flow
	.loc	1 0 20 is_stmt 0                ; attention_fwd.py:0:20
	v_readlane_b32 s46, v251, 0
	v_dual_mov_b32 v188, v167 :: v_dual_mov_b32 v189, v165
	v_dual_mov_b32 v186, v166 :: v_dual_mov_b32 v187, v163
	;; [unrolled: 1-line block ×15, first 2 shown]
	v_mov_b32_e32 v67, v137
	v_mov_b32_e32 v65, v136
	v_readlane_b32 s44, v251, 2
	v_readlane_b32 s47, v251, 1
	s_branch .LBB0_389
.LBB0_388:
	v_dual_mov_b32 v63, 0 :: v_dual_mov_b32 v132, 0xff800000
	s_delay_alu instid0(VALU_DEP_1)
	v_dual_mov_b32 v62, v63 :: v_dual_mov_b32 v61, v63
	v_dual_mov_b32 v60, v63 :: v_dual_mov_b32 v59, v63
	v_dual_mov_b32 v58, v63 :: v_dual_mov_b32 v57, v63
	v_dual_mov_b32 v56, v63 :: v_dual_mov_b32 v55, v63
	v_dual_mov_b32 v54, v63 :: v_dual_mov_b32 v53, v63
	v_dual_mov_b32 v52, v63 :: v_dual_mov_b32 v51, v63
	v_dual_mov_b32 v50, v63 :: v_dual_mov_b32 v49, v63
	v_dual_mov_b32 v48, v63 :: v_dual_mov_b32 v47, v63
	v_dual_mov_b32 v46, v63 :: v_dual_mov_b32 v45, v63
	v_dual_mov_b32 v44, v63 :: v_dual_mov_b32 v43, v63
	v_dual_mov_b32 v42, v63 :: v_dual_mov_b32 v41, v63
	v_dual_mov_b32 v40, v63 :: v_dual_mov_b32 v39, v63
	v_dual_mov_b32 v38, v63 :: v_dual_mov_b32 v37, v63
	v_dual_mov_b32 v36, v63 :: v_dual_mov_b32 v35, v63
	v_dual_mov_b32 v34, v63 :: v_dual_mov_b32 v33, v63
	v_dual_mov_b32 v32, v63 :: v_dual_mov_b32 v31, v63
	v_dual_mov_b32 v30, v63 :: v_dual_mov_b32 v29, v63
	v_dual_mov_b32 v28, v63 :: v_dual_mov_b32 v27, v63
	v_dual_mov_b32 v26, v63 :: v_dual_mov_b32 v25, v63
	v_dual_mov_b32 v24, v63 :: v_dual_mov_b32 v23, v63
	v_dual_mov_b32 v22, v63 :: v_dual_mov_b32 v21, v63
	v_dual_mov_b32 v20, v63 :: v_dual_mov_b32 v19, v63
	v_dual_mov_b32 v18, v63 :: v_dual_mov_b32 v17, v63
	v_dual_mov_b32 v16, v63 :: v_dual_mov_b32 v15, v63
	v_dual_mov_b32 v14, v63 :: v_dual_mov_b32 v13, v63
	v_dual_mov_b32 v12, v63 :: v_dual_mov_b32 v11, v63
	v_dual_mov_b32 v10, v63 :: v_dual_mov_b32 v9, v63
	v_dual_mov_b32 v8, v63 :: v_dual_mov_b32 v7, v63
	v_dual_mov_b32 v6, v63 :: v_dual_mov_b32 v5, v63
	v_dual_mov_b32 v4, v63 :: v_dual_mov_b32 v3, v63
	v_dual_mov_b32 v2, v63 :: v_dual_mov_b32 v1, v63
	v_dual_mov_b32 v0, v63 :: v_dual_mov_b32 v131, v63
.LBB0_389:                              ; %Flow609
	s_load_b64 s[4:5], s[46:47], 0x3c
	.loc	1 35 32 is_stmt 1               ; attention_fwd.py:35:32
	ds_store_b16 v76, v65 offset:16384
	ds_store_b16 v76, v74 offset:20480
	;; [unrolled: 1-line block ×32, first 2 shown]
	s_wait_loadcnt_dscnt 0x0
	s_barrier_signal -1
	.loc	1 31 32                         ; attention_fwd.py:31:32
	s_add_co_i32 s1, s34, 63
	v_dual_mov_b32 v64, 0 :: v_dual_mov_b32 v65, 0
	s_wait_alu depctr_sa_sdst(0)
	s_ashr_i32 s0, s1, 31
	v_dual_mov_b32 v66, 0 :: v_dual_mov_b32 v67, 0
	s_wait_alu depctr_sa_sdst(0)
	s_lshr_b32 s0, s0, 26
	v_dual_mov_b32 v68, 0 :: v_dual_mov_b32 v69, 0
	s_wait_alu depctr_sa_sdst(0)
	s_add_co_i32 s0, s1, s0
	v_dual_mov_b32 v70, 0 :: v_dual_mov_b32 v71, 0
	s_wait_alu depctr_sa_sdst(0)
	s_ashr_i32 s0, s0, 6
	v_dual_mov_b32 v72, 0 :: v_dual_mov_b32 v73, 0
	s_wait_alu depctr_sa_sdst(0)
	s_max_i32 s0, s0, 1
	v_dual_mov_b32 v74, 0 :: v_dual_mov_b32 v75, 0
	v_dual_mov_b32 v76, 0 :: v_dual_mov_b32 v77, 0
	;; [unrolled: 1-line block ×11, first 2 shown]
	s_cmp_gt_i32 s1, 63
	.loc	1 35 32                         ; attention_fwd.py:35:32
	s_barrier_wait -1
	.loc	1 31 32                         ; attention_fwd.py:31:32
	s_cselect_b32 s3, -1, 0
	s_cmp_lt_i32 s1, 64
	.loc	1 35 32                         ; attention_fwd.py:35:32
	global_inv scope:SCOPE_SE
	s_cbranch_scc1 .LBB0_391
; %bb.390:
	v_add_nc_u32_e32 v65, 0, v133
	v_xad_u32 v64, 0xa0, v133, 0
	v_xad_u32 v228, 0x80, v133, 0
	v_xad_u32 v66, v133, 64, 0
	v_xad_u32 v226, 0xe0, v133, 0
	ds_load_b128 v[174:177], v65 offset:28672
	ds_load_b128 v[88:91], v65 offset:24576
	;; [unrolled: 1-line block ×10, first 2 shown]
	v_xad_u32 v64, v133, 32, 0
	v_xad_u32 v65, 0x60, v133, 0
	ds_load_b128 v[178:181], v64 offset:20480
	ds_load_b128 v[182:185], v64 offset:16384
	;; [unrolled: 1-line block ×12, first 2 shown]
	v_xad_u32 v227, 0xc0, v133, 0
	ds_load_b128 v[134:137], v226 offset:28672
	ds_load_b128 v[138:141], v226 offset:24576
	;; [unrolled: 1-line block ×4, first 2 shown]
	.loc	1 35 23 is_stmt 0               ; attention_fwd.py:35:23
	s_wait_dscnt 0x14
	v_wmma_f32_16x16x16_bf16 v[64:71], v[72:75], v[124:127], 0
	v_wmma_f32_16x16x16_bf16 v[72:79], v[80:83], v[124:127], 0
	;; [unrolled: 1-line block ×4, first 2 shown]
	.loc	1 35 32                         ; attention_fwd.py:35:32
	ds_load_b128 v[124:127], v228 offset:28672
	ds_load_b128 v[174:177], v228 offset:24576
	.loc	1 35 23                         ; attention_fwd.py:35:23
	s_wait_dscnt 0x10
	v_wmma_f32_16x16x16_bf16 v[64:71], v[182:185], v[116:119], v[64:71]
	v_wmma_f32_16x16x16_bf16 v[72:79], v[178:181], v[116:119], v[72:79]
	s_wait_dscnt 0xe
	v_wmma_f32_16x16x16_bf16 v[80:87], v[190:193], v[116:119], v[80:87]
	v_wmma_f32_16x16x16_bf16 v[88:95], v[186:189], v[116:119], v[88:95]
	.loc	1 35 32                         ; attention_fwd.py:35:32
	ds_load_b128 v[116:119], v227 offset:20480
	ds_load_b128 v[178:181], v227 offset:16384
	.loc	1 35 23                         ; attention_fwd.py:35:23
	s_wait_dscnt 0xc
	v_wmma_f32_16x16x16_bf16 v[64:71], v[206:209], v[120:123], v[64:71]
	v_wmma_f32_16x16x16_bf16 v[72:79], v[202:205], v[120:123], v[72:79]
	s_wait_dscnt 0xa
	v_wmma_f32_16x16x16_bf16 v[80:87], v[214:217], v[120:123], v[80:87]
	v_wmma_f32_16x16x16_bf16 v[88:95], v[210:213], v[120:123], v[88:95]
	.loc	1 35 32                         ; attention_fwd.py:35:32
	ds_load_b128 v[120:123], v226 offset:20480
	ds_load_b128 v[182:185], v226 offset:16384
	.loc	1 35 23                         ; attention_fwd.py:35:23
	s_wait_dscnt 0xa
	v_wmma_f32_16x16x16_bf16 v[64:71], v[222:225], v[112:115], v[64:71]
	v_wmma_f32_16x16x16_bf16 v[72:79], v[218:221], v[112:115], v[72:79]
	;; [unrolled: 1-line block ×4, first 2 shown]
	s_delay_alu instid0(VALU_DEP_4) | instskip(NEXT) | instid1(VALU_DEP_4)
	v_wmma_f32_16x16x16_bf16 v[64:71], v[170:173], v[108:111], v[64:71]
	v_wmma_f32_16x16x16_bf16 v[72:79], v[166:169], v[108:111], v[72:79]
	s_wait_dscnt 0x5
	s_delay_alu instid0(VALU_DEP_3)
	v_wmma_f32_16x16x16_bf16 v[88:95], v[124:127], v[108:111], v[88:95]
	s_wait_dscnt 0x4
	v_wmma_f32_16x16x16_bf16 v[80:87], v[174:177], v[108:111], v[80:87]
	v_wmma_f32_16x16x16_bf16 v[64:71], v[162:165], v[104:107], v[64:71]
	;; [unrolled: 1-line block ×4, first 2 shown]
	s_delay_alu instid0(VALU_DEP_4)
	v_wmma_f32_16x16x16_bf16 v[80:87], v[154:157], v[104:107], v[80:87]
	s_wait_dscnt 0x2
	v_wmma_f32_16x16x16_bf16 v[64:71], v[178:181], v[100:103], v[64:71]
	v_wmma_f32_16x16x16_bf16 v[72:79], v[116:119], v[100:103], v[72:79]
	;; [unrolled: 1-line block ×4, first 2 shown]
	s_wait_dscnt 0x0
	v_wmma_f32_16x16x16_bf16 v[64:71], v[182:185], v[96:99], v[64:71]
	v_wmma_f32_16x16x16_bf16 v[72:79], v[120:123], v[96:99], v[72:79]
	;; [unrolled: 1-line block ×4, first 2 shown]
.LBB0_391:
	.loc	1 31 32 is_stmt 1               ; attention_fwd.py:31:32
	s_wait_alu depctr_sa_sdst(0)
	s_lshl_b32 s0, s0, 6
	.loc	1 20 54                         ; attention_fwd.py:20:54
	v_or_b32_e32 v96, 1, v128
	.loc	1 31 32                         ; attention_fwd.py:31:32
	s_wait_alu depctr_sa_sdst(0)
	s_sub_co_i32 s0, s0, 64
	.loc	1 20 54                         ; attention_fwd.py:20:54
	v_or_b32_e32 v97, 2, v128
	.loc	1 32 27                         ; attention_fwd.py:32:27
	s_wait_alu depctr_sa_sdst(0)
	v_or_b32_e32 v127, s0, v128
	.loc	1 35 38                         ; attention_fwd.py:35:38
	s_wait_kmcnt 0x0
	v_dual_mul_f32 v64, s38, v64 :: v_dual_mul_f32 v65, s38, v65
	.loc	1 32 27                         ; attention_fwd.py:32:27
	v_or_b32_e32 v133, s0, v96
	.loc	1 20 54                         ; attention_fwd.py:20:54
	v_or_b32_e32 v98, 3, v128
	.loc	1 36 40                         ; attention_fwd.py:36:40
	v_cmp_gt_i32_e32 vcc_lo, s34, v127
	.loc	1 32 27                         ; attention_fwd.py:32:27
	v_or_b32_e32 v134, s0, v97
	.loc	1 20 54                         ; attention_fwd.py:20:54
	v_or_b32_e32 v99, 4, v128
	.loc	1 35 38                         ; attention_fwd.py:35:38
	v_dual_mul_f32 v66, s38, v66 :: v_dual_mul_f32 v67, s38, v67
	.loc	1 36 52                         ; attention_fwd.py:36:52
	s_wait_alu depctr_va_vcc(0)
	v_cndmask_b32_e32 v64, 0xff800000, v64, vcc_lo
	.loc	1 36 40 is_stmt 0               ; attention_fwd.py:36:40
	v_cmp_gt_i32_e32 vcc_lo, s34, v133
	.loc	1 32 27 is_stmt 1               ; attention_fwd.py:32:27
	v_or_b32_e32 v135, s0, v98
	.loc	1 20 54                         ; attention_fwd.py:20:54
	v_or_b32_e32 v100, 5, v128
	.loc	1 32 27                         ; attention_fwd.py:32:27
	;; [unrolled: 2-line block ×4, first 2 shown]
	s_wait_alu depctr_va_vcc(0)
	v_cndmask_b32_e32 v65, 0xff800000, v65, vcc_lo
	.loc	1 36 40 is_stmt 0               ; attention_fwd.py:36:40
	v_cmp_gt_i32_e32 vcc_lo, s34, v134
	.loc	1 32 27 is_stmt 1               ; attention_fwd.py:32:27
	v_or_b32_e32 v137, s0, v100
	.loc	1 35 38                         ; attention_fwd.py:35:38
	v_dual_mul_f32 v68, s38, v68 :: v_dual_mul_f32 v69, s38, v69
.Ltmp35:
	.loc	2 170 27                        ; standard.py:170:27 @[ standard.py:191:40 @[ attention_fwd.py:39:42 ] ]
	s_wait_alu depctr_va_vcc(0)
	v_dual_max_num_f32 v127, v64, v65 :: v_dual_cndmask_b32 v66, 0xff800000, v66
.Ltmp36:
	.loc	1 36 40                         ; attention_fwd.py:36:40
	v_cmp_gt_i32_e32 vcc_lo, s34, v135
	.loc	1 20 54                         ; attention_fwd.py:20:54
	v_or_b32_e32 v102, 7, v128
	.loc	1 32 27                         ; attention_fwd.py:32:27
	v_or_b32_e32 v138, s0, v101
	;; [unrolled: 2-line block ×3, first 2 shown]
	.loc	1 35 38                         ; attention_fwd.py:35:38
	v_dual_mul_f32 v70, s38, v70 :: v_dual_mul_f32 v71, s38, v71
	.loc	1 36 52                         ; attention_fwd.py:36:52
	s_wait_alu depctr_va_vcc(0)
	v_cndmask_b32_e32 v67, 0xff800000, v67, vcc_lo
	.loc	1 36 40 is_stmt 0               ; attention_fwd.py:36:40
	v_cmp_gt_i32_e32 vcc_lo, s34, v136
	.loc	1 32 27 is_stmt 1               ; attention_fwd.py:32:27
	v_or_b32_e32 v139, s0, v102
	.loc	1 20 54                         ; attention_fwd.py:20:54
	v_or_b32_e32 v104, 17, v128
	.loc	1 32 27                         ; attention_fwd.py:32:27
	;; [unrolled: 2-line block ×4, first 2 shown]
	s_wait_alu depctr_va_vcc(0)
	v_cndmask_b32_e32 v133, 0xff800000, v68, vcc_lo
	.loc	1 36 40 is_stmt 0               ; attention_fwd.py:36:40
	v_cmp_gt_i32_e32 vcc_lo, s34, v137
	.loc	1 32 27 is_stmt 1               ; attention_fwd.py:32:27
	v_or_b32_e32 v141, s0, v104
	.loc	1 35 38                         ; attention_fwd.py:35:38
	v_dual_mul_f32 v72, s38, v72 :: v_dual_mul_f32 v73, s38, v73
	.loc	1 20 54                         ; attention_fwd.py:20:54
	v_or_b32_e32 v106, 19, v128
	.loc	1 36 52                         ; attention_fwd.py:36:52
	s_wait_alu depctr_va_vcc(0)
	v_cndmask_b32_e32 v69, 0xff800000, v69, vcc_lo
	.loc	1 36 40 is_stmt 0               ; attention_fwd.py:36:40
	v_cmp_gt_i32_e32 vcc_lo, s34, v138
	.loc	1 32 27 is_stmt 1               ; attention_fwd.py:32:27
	v_or_b32_e32 v142, s0, v105
	.loc	1 20 54                         ; attention_fwd.py:20:54
	v_or_b32_e32 v107, 20, v128
	.loc	1 32 27                         ; attention_fwd.py:32:27
	;; [unrolled: 2-line block ×3, first 2 shown]
	v_dual_mul_f32 v74, s38, v74 :: v_dual_mul_f32 v75, s38, v75
	.loc	1 36 52                         ; attention_fwd.py:36:52
	s_wait_alu depctr_va_vcc(0)
	v_cndmask_b32_e32 v70, 0xff800000, v70, vcc_lo
	.loc	1 36 40 is_stmt 0               ; attention_fwd.py:36:40
	v_cmp_gt_i32_e32 vcc_lo, s34, v139
	.loc	1 20 54 is_stmt 1               ; attention_fwd.py:20:54
	v_or_b32_e32 v108, 21, v128
	.loc	1 32 27                         ; attention_fwd.py:32:27
	v_or_b32_e32 v144, s0, v107
	.loc	1 20 54                         ; attention_fwd.py:20:54
	;; [unrolled: 2-line block ×3, first 2 shown]
	v_dual_mul_f32 v76, s38, v76 :: v_dual_mul_f32 v77, s38, v77
	.loc	1 36 52                         ; attention_fwd.py:36:52
	s_wait_alu depctr_va_vcc(0)
	v_cndmask_b32_e32 v71, 0xff800000, v71, vcc_lo
	.loc	1 36 40 is_stmt 0               ; attention_fwd.py:36:40
	v_cmp_gt_i32_e32 vcc_lo, s34, v140
	.loc	1 32 27 is_stmt 1               ; attention_fwd.py:32:27
	v_or_b32_e32 v145, s0, v108
	.loc	1 20 54                         ; attention_fwd.py:20:54
	v_or_b32_e32 v110, 23, v128
	.loc	1 32 27                         ; attention_fwd.py:32:27
	;; [unrolled: 2-line block ×4, first 2 shown]
	s_wait_alu depctr_va_vcc(0)
	v_cndmask_b32_e32 v72, 0xff800000, v72, vcc_lo
	.loc	1 36 40 is_stmt 0               ; attention_fwd.py:36:40
	v_cmp_gt_i32_e32 vcc_lo, s34, v141
	.loc	1 32 27 is_stmt 1               ; attention_fwd.py:32:27
	v_or_b32_e32 v147, s0, v110
	.loc	1 35 38                         ; attention_fwd.py:35:38
	v_dual_mul_f32 v78, s38, v78 :: v_dual_mul_f32 v79, s38, v79
	.loc	1 20 54                         ; attention_fwd.py:20:54
	v_or_b32_e32 v112, 33, v128
	.loc	1 36 52                         ; attention_fwd.py:36:52
	s_wait_alu depctr_va_vcc(0)
	v_cndmask_b32_e32 v73, 0xff800000, v73, vcc_lo
	.loc	1 36 40 is_stmt 0               ; attention_fwd.py:36:40
	v_cmp_gt_i32_e32 vcc_lo, s34, v142
	.loc	1 32 27 is_stmt 1               ; attention_fwd.py:32:27
	v_or_b32_e32 v148, s0, v111
	.loc	1 20 54                         ; attention_fwd.py:20:54
	v_or_b32_e32 v113, 34, v128
	.loc	1 32 27                         ; attention_fwd.py:32:27
	;; [unrolled: 2-line block ×3, first 2 shown]
	v_dual_mul_f32 v80, s38, v80 :: v_dual_mul_f32 v81, s38, v81
	.loc	1 36 52                         ; attention_fwd.py:36:52
	s_wait_alu depctr_va_vcc(0)
	v_cndmask_b32_e32 v74, 0xff800000, v74, vcc_lo
	.loc	1 36 40 is_stmt 0               ; attention_fwd.py:36:40
	v_cmp_gt_i32_e32 vcc_lo, s34, v143
	.loc	1 20 54 is_stmt 1               ; attention_fwd.py:20:54
	v_or_b32_e32 v114, 35, v128
	.loc	1 32 27                         ; attention_fwd.py:32:27
	v_or_b32_e32 v150, s0, v113
	.loc	1 20 54                         ; attention_fwd.py:20:54
	;; [unrolled: 2-line block ×3, first 2 shown]
	v_dual_mul_f32 v82, s38, v82 :: v_dual_mul_f32 v83, s38, v83
	.loc	1 36 52                         ; attention_fwd.py:36:52
	s_wait_alu depctr_va_vcc(0)
	v_cndmask_b32_e32 v75, 0xff800000, v75, vcc_lo
	.loc	1 36 40 is_stmt 0               ; attention_fwd.py:36:40
	v_cmp_gt_i32_e32 vcc_lo, s34, v144
	.loc	1 32 27 is_stmt 1               ; attention_fwd.py:32:27
	v_or_b32_e32 v151, s0, v114
	.loc	1 20 54                         ; attention_fwd.py:20:54
	v_or_b32_e32 v116, 37, v128
	.loc	1 32 27                         ; attention_fwd.py:32:27
	v_or_b32_e32 v152, s0, v115
.Ltmp37:
	.loc	2 170 27                        ; standard.py:170:27 @[ standard.py:191:40 @[ attention_fwd.py:39:42 ] ]
	v_max3_num_f32 v68, v127, v66, v67
.Ltmp38:
	.loc	1 36 52                         ; attention_fwd.py:36:52
	s_wait_alu depctr_va_vcc(0)
	v_cndmask_b32_e32 v76, 0xff800000, v76, vcc_lo
	.loc	1 36 40 is_stmt 0               ; attention_fwd.py:36:40
	v_cmp_gt_i32_e32 vcc_lo, s34, v145
	.loc	1 20 54 is_stmt 1               ; attention_fwd.py:20:54
	v_or_b32_e32 v117, 38, v128
	.loc	1 32 27                         ; attention_fwd.py:32:27
	v_or_b32_e32 v153, s0, v116
	.loc	1 35 38                         ; attention_fwd.py:35:38
	v_dual_mul_f32 v84, s38, v84 :: v_dual_mul_f32 v85, s38, v85
	.loc	1 36 52                         ; attention_fwd.py:36:52
	s_wait_alu depctr_va_vcc(0)
	v_cndmask_b32_e32 v77, 0xff800000, v77, vcc_lo
	.loc	1 36 40 is_stmt 0               ; attention_fwd.py:36:40
	v_cmp_gt_i32_e32 vcc_lo, s34, v146
.Ltmp39:
	.loc	2 170 27 is_stmt 1              ; standard.py:170:27 @[ standard.py:191:40 @[ attention_fwd.py:39:42 ] ]
	v_max3_num_f32 v68, v68, v133, v69
.Ltmp40:
	.loc	1 20 54                         ; attention_fwd.py:20:54
	v_or_b32_e32 v118, 39, v128
	.loc	1 32 27                         ; attention_fwd.py:32:27
	v_or_b32_e32 v154, s0, v117
	;; [unrolled: 2-line block ×3, first 2 shown]
	.loc	1 36 52                         ; attention_fwd.py:36:52
	s_wait_alu depctr_va_vcc(0)
	v_cndmask_b32_e32 v78, 0xff800000, v78, vcc_lo
	.loc	1 36 40 is_stmt 0               ; attention_fwd.py:36:40
	v_cmp_gt_i32_e32 vcc_lo, s34, v147
.Ltmp41:
	.loc	2 170 27 is_stmt 1              ; standard.py:170:27 @[ standard.py:191:40 @[ attention_fwd.py:39:42 ] ]
	v_max3_num_f32 v68, v68, v70, v71
.Ltmp42:
	.loc	1 32 27                         ; attention_fwd.py:32:27
	v_or_b32_e32 v155, s0, v118
	.loc	1 35 38                         ; attention_fwd.py:35:38
	v_dual_mul_f32 v86, s38, v86 :: v_dual_mul_f32 v87, s38, v87
	.loc	1 36 52                         ; attention_fwd.py:36:52
	s_wait_alu depctr_va_vcc(0)
	v_cndmask_b32_e32 v79, 0xff800000, v79, vcc_lo
	.loc	1 36 40 is_stmt 0               ; attention_fwd.py:36:40
	v_cmp_gt_i32_e32 vcc_lo, s34, v148
.Ltmp43:
	.loc	2 170 27 is_stmt 1              ; standard.py:170:27 @[ standard.py:191:40 @[ attention_fwd.py:39:42 ] ]
	v_max3_num_f32 v68, v68, v72, v73
.Ltmp44:
	.loc	1 20 54                         ; attention_fwd.py:20:54
	v_or_b32_e32 v120, 49, v128
	.loc	1 32 27                         ; attention_fwd.py:32:27
	v_or_b32_e32 v156, s0, v119
	;; [unrolled: 2-line block ×3, first 2 shown]
	.loc	1 36 52                         ; attention_fwd.py:36:52
	s_wait_alu depctr_va_vcc(0)
	v_cndmask_b32_e32 v80, 0xff800000, v80, vcc_lo
	.loc	1 36 40 is_stmt 0               ; attention_fwd.py:36:40
	v_cmp_gt_i32_e32 vcc_lo, s34, v149
.Ltmp45:
	.loc	2 170 27 is_stmt 1              ; standard.py:170:27 @[ standard.py:191:40 @[ attention_fwd.py:39:42 ] ]
	v_max3_num_f32 v68, v68, v74, v75
.Ltmp46:
	.loc	1 32 27                         ; attention_fwd.py:32:27
	v_or_b32_e32 v157, s0, v120
	.loc	1 35 38                         ; attention_fwd.py:35:38
	v_dual_mul_f32 v88, s38, v88 :: v_dual_mul_f32 v89, s38, v89
	.loc	1 36 52                         ; attention_fwd.py:36:52
	s_wait_alu depctr_va_vcc(0)
	v_cndmask_b32_e32 v81, 0xff800000, v81, vcc_lo
	.loc	1 36 40 is_stmt 0               ; attention_fwd.py:36:40
	v_cmp_gt_i32_e32 vcc_lo, s34, v150
.Ltmp47:
	.loc	2 170 27 is_stmt 1              ; standard.py:170:27 @[ standard.py:191:40 @[ attention_fwd.py:39:42 ] ]
	v_max3_num_f32 v68, v68, v76, v77
.Ltmp48:
	.loc	1 20 54                         ; attention_fwd.py:20:54
	v_or_b32_e32 v122, 51, v128
	.loc	1 32 27                         ; attention_fwd.py:32:27
	v_or_b32_e32 v158, s0, v121
	;; [unrolled: 2-line block ×3, first 2 shown]
	.loc	1 36 52                         ; attention_fwd.py:36:52
	s_wait_alu depctr_va_vcc(0)
	v_cndmask_b32_e32 v82, 0xff800000, v82, vcc_lo
	.loc	1 36 40 is_stmt 0               ; attention_fwd.py:36:40
	v_cmp_gt_i32_e32 vcc_lo, s34, v151
.Ltmp49:
	.loc	2 170 27 is_stmt 1              ; standard.py:170:27 @[ standard.py:191:40 @[ attention_fwd.py:39:42 ] ]
	v_max3_num_f32 v68, v68, v78, v79
.Ltmp50:
	.loc	1 32 27                         ; attention_fwd.py:32:27
	v_or_b32_e32 v159, s0, v122
	.loc	1 35 38                         ; attention_fwd.py:35:38
	v_dual_mul_f32 v90, s38, v90 :: v_dual_mul_f32 v91, s38, v91
	.loc	1 36 52                         ; attention_fwd.py:36:52
	s_wait_alu depctr_va_vcc(0)
	v_cndmask_b32_e32 v83, 0xff800000, v83, vcc_lo
	.loc	1 36 40 is_stmt 0               ; attention_fwd.py:36:40
	v_cmp_gt_i32_e32 vcc_lo, s34, v152
.Ltmp51:
	.loc	2 170 27 is_stmt 1              ; standard.py:170:27 @[ standard.py:191:40 @[ attention_fwd.py:39:42 ] ]
	v_max3_num_f32 v68, v68, v80, v81
.Ltmp52:
	.loc	1 20 54                         ; attention_fwd.py:20:54
	v_or_b32_e32 v124, 53, v128
	.loc	1 32 27                         ; attention_fwd.py:32:27
	v_or_b32_e32 v160, s0, v123
	;; [unrolled: 2-line block ×3, first 2 shown]
	.loc	1 36 52                         ; attention_fwd.py:36:52
	s_wait_alu depctr_va_vcc(0)
	v_cndmask_b32_e32 v84, 0xff800000, v84, vcc_lo
	.loc	1 36 40 is_stmt 0               ; attention_fwd.py:36:40
	v_cmp_gt_i32_e32 vcc_lo, s34, v153
.Ltmp53:
	.loc	2 170 27 is_stmt 1              ; standard.py:170:27 @[ standard.py:191:40 @[ attention_fwd.py:39:42 ] ]
	v_max3_num_f32 v68, v68, v82, v83
.Ltmp54:
	.loc	1 32 27                         ; attention_fwd.py:32:27
	v_or_b32_e32 v161, s0, v124
	.loc	1 35 38                         ; attention_fwd.py:35:38
	v_dual_mul_f32 v92, s38, v92 :: v_dual_mul_f32 v93, s38, v93
	.loc	1 36 52                         ; attention_fwd.py:36:52
	s_wait_alu depctr_va_vcc(0)
	v_cndmask_b32_e32 v85, 0xff800000, v85, vcc_lo
	.loc	1 36 40 is_stmt 0               ; attention_fwd.py:36:40
	v_cmp_gt_i32_e32 vcc_lo, s34, v154
	.loc	1 20 54 is_stmt 1               ; attention_fwd.py:20:54
	v_or_b32_e32 v126, 55, v128
	.loc	1 32 27                         ; attention_fwd.py:32:27
	v_or_b32_e32 v162, s0, v125
	.loc	1 35 38                         ; attention_fwd.py:35:38
	v_dual_mul_f32 v94, s38, v94 :: v_dual_mul_f32 v95, s38, v95
	.loc	1 36 52                         ; attention_fwd.py:36:52
	s_wait_alu depctr_va_vcc(0)
	v_cndmask_b32_e32 v86, 0xff800000, v86, vcc_lo
	.loc	1 36 40 is_stmt 0               ; attention_fwd.py:36:40
	v_cmp_gt_i32_e32 vcc_lo, s34, v155
.Ltmp55:
	.loc	2 170 27 is_stmt 1              ; standard.py:170:27 @[ standard.py:191:40 @[ attention_fwd.py:39:42 ] ]
	v_max3_num_f32 v68, v68, v84, v85
.Ltmp56:
	.loc	1 32 27                         ; attention_fwd.py:32:27
	v_or_b32_e32 v163, s0, v126
	s_mov_b32 s6, 0x76543210
	.loc	1 36 52                         ; attention_fwd.py:36:52
	s_wait_alu depctr_va_vcc(0)
	v_cndmask_b32_e32 v87, 0xff800000, v87, vcc_lo
	.loc	1 36 40 is_stmt 0               ; attention_fwd.py:36:40
	v_cmp_gt_i32_e32 vcc_lo, s34, v156
	s_delay_alu instid0(VALU_DEP_2)
.Ltmp57:
	.loc	2 170 27 is_stmt 1              ; standard.py:170:27 @[ standard.py:191:40 @[ attention_fwd.py:39:42 ] ]
	v_max3_num_f32 v68, v68, v86, v87
.Ltmp58:
	.loc	1 36 52                         ; attention_fwd.py:36:52
	s_wait_alu depctr_va_vcc(0)
	v_cndmask_b32_e32 v88, 0xff800000, v88, vcc_lo
	.loc	1 36 40 is_stmt 0               ; attention_fwd.py:36:40
	v_cmp_gt_i32_e32 vcc_lo, s34, v157
	.loc	1 36 52                         ; attention_fwd.py:36:52
	s_wait_alu depctr_va_vcc(0)
	v_cndmask_b32_e32 v89, 0xff800000, v89, vcc_lo
	.loc	1 36 40                         ; attention_fwd.py:36:40
	v_cmp_gt_i32_e32 vcc_lo, s34, v158
	s_delay_alu instid0(VALU_DEP_2)
.Ltmp59:
	.loc	2 170 27 is_stmt 1              ; standard.py:170:27 @[ standard.py:191:40 @[ attention_fwd.py:39:42 ] ]
	v_max3_num_f32 v68, v68, v88, v89
.Ltmp60:
	.loc	1 36 52                         ; attention_fwd.py:36:52
	s_wait_alu depctr_va_vcc(0)
	v_cndmask_b32_e32 v90, 0xff800000, v90, vcc_lo
	.loc	1 36 40 is_stmt 0               ; attention_fwd.py:36:40
	v_cmp_gt_i32_e32 vcc_lo, s34, v159
	.loc	1 36 52                         ; attention_fwd.py:36:52
	s_wait_alu depctr_va_vcc(0)
	v_cndmask_b32_e32 v91, 0xff800000, v91, vcc_lo
	.loc	1 36 40                         ; attention_fwd.py:36:40
	v_cmp_gt_i32_e32 vcc_lo, s34, v160
	s_delay_alu instid0(VALU_DEP_2)
.Ltmp61:
	.loc	2 170 27 is_stmt 1              ; standard.py:170:27 @[ standard.py:191:40 @[ attention_fwd.py:39:42 ] ]
	v_max3_num_f32 v68, v68, v90, v91
.Ltmp62:
	.loc	1 36 52                         ; attention_fwd.py:36:52
	s_wait_alu depctr_va_vcc(0)
	v_cndmask_b32_e32 v92, 0xff800000, v92, vcc_lo
	.loc	1 36 40 is_stmt 0               ; attention_fwd.py:36:40
	v_cmp_gt_i32_e32 vcc_lo, s34, v161
	.loc	1 36 52                         ; attention_fwd.py:36:52
	s_wait_alu depctr_va_vcc(0)
	v_cndmask_b32_e32 v93, 0xff800000, v93, vcc_lo
	.loc	1 36 40                         ; attention_fwd.py:36:40
	v_cmp_gt_i32_e32 vcc_lo, s34, v162
	s_delay_alu instid0(VALU_DEP_2)
.Ltmp63:
	.loc	2 170 27 is_stmt 1              ; standard.py:170:27 @[ standard.py:191:40 @[ attention_fwd.py:39:42 ] ]
	v_max3_num_f32 v68, v68, v92, v93
.Ltmp64:
	.loc	1 36 52                         ; attention_fwd.py:36:52
	s_wait_alu depctr_va_vcc(0)
	v_cndmask_b32_e32 v94, 0xff800000, v94, vcc_lo
	.loc	1 36 40 is_stmt 0               ; attention_fwd.py:36:40
	v_cmp_gt_i32_e32 vcc_lo, s34, v163
	.loc	1 36 52                         ; attention_fwd.py:36:52
	s_wait_alu depctr_va_vcc(0)
	v_cndmask_b32_e32 v95, 0xff800000, v95, vcc_lo
	s_delay_alu instid0(VALU_DEP_1) | instskip(SKIP_1) | instid1(VALU_DEP_1)
.Ltmp65:
	.loc	2 170 27 is_stmt 1              ; standard.py:170:27 @[ standard.py:191:40 @[ attention_fwd.py:39:42 ] ]
	v_max3_num_f32 v68, v68, v94, v95
.Ltmp66:
	.loc	2 191 40                        ; standard.py:191:40 @[ attention_fwd.py:39:42 ]
	s_wait_alu depctr_sa_sdst(0)
	v_permlanex16_b32 v127, v68, s6, 0xfedcba98 op_sel:[1,0]
	s_delay_alu instid0(VALU_DEP_1) | instskip(NEXT) | instid1(VALU_DEP_1)
.Ltmp67:
	.loc	1 39 31                         ; attention_fwd.py:39:31
	v_max3_num_f32 v68, v132, v68, v127
	.loc	1 40 24                         ; attention_fwd.py:40:24
	v_sub_f32_e32 v64, v64, v68
	v_sub_f32_e32 v65, v65, v68
	;; [unrolled: 1-line block ×7, first 2 shown]
	.loc	1 40 19 is_stmt 0               ; attention_fwd.py:40:19
	v_mul_f32_e32 v69, 0x3fb8aa3b, v64
	.loc	1 40 24                         ; attention_fwd.py:40:24
	v_sub_f32_e32 v72, v72, v68
	v_sub_f32_e32 v71, v71, v68
	;; [unrolled: 1-line block ×3, first 2 shown]
	.loc	1 40 19                         ; attention_fwd.py:40:19
	v_mul_f32_e32 v86, 0x3fb8aa3b, v67
	v_cmp_gt_f32_e32 vcc_lo, 0xc2fc0000, v69
	.loc	1 40 24                         ; attention_fwd.py:40:24
	v_sub_f32_e32 v78, v78, v68
	v_sub_f32_e32 v77, v77, v68
	v_sub_f32_e32 v82, v82, v68
	v_sub_f32_e32 v81, v81, v68
	.loc	1 40 19                         ; attention_fwd.py:40:19
	s_wait_alu depctr_va_vcc(0)
	v_cndmask_b32_e64 v69, 0, 0x42800000, vcc_lo
	.loc	1 40 24                         ; attention_fwd.py:40:24
	v_dual_sub_f32 v139, v88, v68 :: v_dual_mul_f32 v88, 0x3fb8aa3b, v127
	v_sub_f32_e32 v140, v89, v68
	v_sub_f32_e32 v138, v87, v68
	s_delay_alu instid0(VALU_DEP_4)
	.loc	1 40 19                         ; attention_fwd.py:40:19
	v_dual_fmac_f32 v69, 0x3fb8aa3b, v64 :: v_dual_mul_f32 v64, 0x3fb8aa3b, v65
	v_cndmask_b32_e64 v87, 0, 0xffffffc0, vcc_lo
	v_cmp_gt_f32_e64 s2, 0xc2fc0000, v88
	v_cmp_gt_f32_e64 s1, 0xc2fc0000, v86
	.loc	1 40 24                         ; attention_fwd.py:40:24
	v_sub_f32_e32 v74, v74, v68
	.loc	1 40 19                         ; attention_fwd.py:40:19
	v_cmp_gt_f32_e64 s0, 0xc2fc0000, v64
	v_dual_mul_f32 v64, 0x3fb8aa3b, v66 :: v_dual_sub_f32 v73, v73, v68
	s_wait_alu depctr_va_sdst(0)
	v_cndmask_b32_e64 v86, 0, 0x42800000, s1
	.loc	1 40 24                         ; attention_fwd.py:40:24
	v_sub_f32_e32 v141, v90, v68
	.loc	1 40 19                         ; attention_fwd.py:40:19
	v_cndmask_b32_e64 v70, 0, 0x42800000, s0
	v_cmp_gt_f32_e32 vcc_lo, 0xc2fc0000, v64
	s_delay_alu instid0(VALU_DEP_4) | instskip(SKIP_1) | instid1(VALU_DEP_4)
	.loc	1 40 24                         ; attention_fwd.py:40:24
	v_dual_sub_f32 v85, v85, v68 :: v_dual_fmac_f32 v86, 0x3fb8aa3b, v67
	v_sub_f32_e32 v76, v76, v68
	.loc	1 40 19                         ; attention_fwd.py:40:19
	v_fmac_f32_e32 v70, 0x3fb8aa3b, v65
	s_wait_alu depctr_va_vcc(0)
	v_cndmask_b32_e64 v65, 0, 0x42800000, vcc_lo
	.loc	1 40 24                         ; attention_fwd.py:40:24
	v_sub_f32_e32 v146, v95, v68
	v_sub_f32_e32 v75, v75, v68
	v_dual_sub_f32 v145, v94, v68 :: v_dual_mul_f32 v88, 0x3fb8aa3b, v134
	s_delay_alu instid0(VALU_DEP_4)
	.loc	1 40 19                         ; attention_fwd.py:40:19
	v_fmac_f32_e32 v65, 0x3fb8aa3b, v66
	v_cndmask_b32_e64 v66, 0, 0x42800000, s2
	v_mul_f32_e32 v67, 0x3fb8aa3b, v133
	v_exp_f32_e32 v86, v86
	v_mul_f32_e32 v90, 0x3fb8aa3b, v73
	v_exp_f32_e32 v65, v65
	v_fmac_f32_e32 v66, 0x3fb8aa3b, v127
	v_exp_f32_e32 v69, v69
	.loc	1 40 24                         ; attention_fwd.py:40:24
	v_sub_f32_e32 v144, v93, v68
	v_sub_f32_e32 v142, v91, v68
	s_delay_alu instid0(VALU_DEP_3) | instskip(NEXT) | instid1(TRANS32_DEP_2)
	.loc	1 40 19                         ; attention_fwd.py:40:19
	v_exp_f32_e32 v66, v66
	v_ldexp_f32 v64, v69, v87
	v_exp_f32_e32 v69, v70
	v_cndmask_b32_e64 v70, 0, 0xffffffc0, s0
	v_cndmask_b32_e64 v87, 0, 0xffffffc0, s1
	s_delay_alu instid0(TRANS32_DEP_1) | instid1(VALU_DEP_2)
	v_ldexp_f32 v69, v69, v70
	v_cndmask_b32_e64 v70, 0, 0xffffffc0, vcc_lo
	v_cmp_gt_f32_e32 vcc_lo, 0xc2fc0000, v88
	v_mul_f32_e32 v88, 0x3fb8aa3b, v71
	v_cmp_gt_f32_e64 s0, 0xc2fc0000, v67
	s_delay_alu instid0(VALU_DEP_4)
	v_ldexp_f32 v65, v65, v70
	v_ldexp_f32 v70, v86, v87
	v_cndmask_b32_e64 v86, 0, 0xffffffc0, s2
	s_wait_alu depctr_va_sdst(0)
	v_cndmask_b32_e64 v67, 0, 0x42800000, s0
	s_wait_alu depctr_va_vcc(0)
	v_cndmask_b32_e64 v87, 0, 0x42800000, vcc_lo
	v_cndmask_b32_e64 v89, 0, 0xffffffc0, s0
	v_cmp_gt_f32_e64 s0, 0xc2fc0000, v88
	v_ldexp_f32 v66, v66, v86
	v_dual_fmac_f32 v67, 0x3fb8aa3b, v133 :: v_dual_mul_f32 v86, 0x3fb8aa3b, v72
	v_fmac_f32_e32 v87, 0x3fb8aa3b, v134
	s_wait_alu depctr_va_sdst(0)
	v_cndmask_b32_e64 v88, 0, 0x42800000, s0
	v_cmp_gt_f32_e64 s2, 0xc2fc0000, v90
	v_exp_f32_e32 v67, v67
	v_cmp_gt_f32_e64 s1, 0xc2fc0000, v86
	v_exp_f32_e32 v87, v87
	v_dual_fmac_f32 v88, 0x3fb8aa3b, v71 :: v_dual_mul_f32 v71, 0x3fb8aa3b, v74
	s_wait_alu depctr_va_sdst(0)
	s_delay_alu instid0(VALU_DEP_2) | instskip(NEXT) | instid1(VALU_DEP_2)
	v_cndmask_b32_e64 v86, 0, 0x42800000, s1
	v_exp_f32_e32 v88, v88
	s_delay_alu instid0(TRANS32_DEP_3) | instskip(NEXT) | instid1(VALU_DEP_2)
	v_ldexp_f32 v67, v67, v89
	v_fmac_f32_e32 v86, 0x3fb8aa3b, v72
	v_cndmask_b32_e64 v72, 0, 0x42800000, s2
	v_cndmask_b32_e64 v89, 0, 0xffffffc0, vcc_lo
	v_cmp_gt_f32_e32 vcc_lo, 0xc2fc0000, v71
	s_delay_alu instid0(VALU_DEP_3) | instskip(NEXT) | instid1(VALU_DEP_3)
	v_fmac_f32_e32 v72, 0x3fb8aa3b, v73
	v_ldexp_f32 v71, v87, v89
	s_wait_alu depctr_va_vcc(0)
	v_cndmask_b32_e64 v73, 0, 0x42800000, vcc_lo
	v_cndmask_b32_e64 v89, 0, 0xffffffc0, s1
	v_cndmask_b32_e64 v87, 0, 0xffffffc0, s0
	s_delay_alu instid0(VALU_DEP_3) | instskip(SKIP_2) | instid1(VALU_DEP_2)
	v_fmac_f32_e32 v73, 0x3fb8aa3b, v74
	v_exp_f32_e32 v86, v86
	v_mul_f32_e32 v74, 0x3fb8aa3b, v75
	v_exp_f32_e32 v73, v73
	s_delay_alu instid0(TRANS32_DEP_2) | instskip(SKIP_1) | instid1(VALU_DEP_3)
	v_ldexp_f32 v86, v86, v89
	v_mul_f32_e32 v89, 0x3fb8aa3b, v77
	v_cmp_gt_f32_e64 s0, 0xc2fc0000, v74
	s_delay_alu instid0(VALU_DEP_2)
	v_cmp_gt_f32_e64 s1, 0xc2fc0000, v89
	v_mul_f32_e32 v89, 0x3fb8aa3b, v78
	v_exp_f32_e32 v90, v72
	v_ldexp_f32 v72, v88, v87
	v_cndmask_b32_e64 v87, 0, 0xffffffc0, s2
	v_mul_f32_e32 v88, 0x3fb8aa3b, v76
	s_wait_alu depctr_va_sdst(0)
	v_cndmask_b32_e64 v74, 0, 0x42800000, s0
	v_cmp_gt_f32_e64 s2, 0xc2fc0000, v89
	s_delay_alu instid0(VALU_DEP_2) | instskip(NEXT) | instid1(TRANS32_DEP_1)
	v_fmac_f32_e32 v74, 0x3fb8aa3b, v75
	v_ldexp_f32 v87, v90, v87
	v_cndmask_b32_e64 v90, 0, 0xffffffc0, vcc_lo
	v_cmp_gt_f32_e32 vcc_lo, 0xc2fc0000, v88
	v_cndmask_b32_e64 v88, 0, 0x42800000, s1
	s_delay_alu instid0(VALU_DEP_3) | instskip(SKIP_2) | instid1(VALU_DEP_3)
	v_ldexp_f32 v91, v73, v90
	s_wait_alu depctr_va_vcc(0)
	v_cndmask_b32_e64 v75, 0, 0x42800000, vcc_lo
	v_fmac_f32_e32 v88, 0x3fb8aa3b, v77
	v_cndmask_b32_e64 v77, 0, 0xffffffc0, s0
	s_delay_alu instid0(VALU_DEP_3) | instskip(SKIP_3) | instid1(VALU_DEP_2)
	v_fmac_f32_e32 v75, 0x3fb8aa3b, v76
	v_exp_f32_e32 v73, v74
	s_wait_alu depctr_va_sdst(0)
	v_cndmask_b32_e64 v74, 0, 0x42800000, s2
	v_exp_f32_e32 v75, v75
	s_delay_alu instid0(VALU_DEP_1) | instskip(NEXT) | instid1(TRANS32_DEP_2)
	v_fmac_f32_e32 v74, 0x3fb8aa3b, v78
	v_ldexp_f32 v93, v73, v77
	v_cndmask_b32_e64 v73, 0, 0xffffffc0, vcc_lo
	s_delay_alu instid0(VALU_DEP_3)
	v_exp_f32_e32 v74, v74
	v_cndmask_b32_e64 v77, 0, 0xffffffc0, s1
	s_delay_alu instid0(TRANS32_DEP_2) | instid1(VALU_DEP_2)
	v_ldexp_f32 v134, v75, v73
	v_cndmask_b32_e64 v73, 0, 0xffffffc0, s2
	s_delay_alu instid0(TRANS32_DEP_1) | instid1(VALU_DEP_1)
	v_ldexp_f32 v135, v74, v73
.Ltmp68:
	.loc	2 263 15 is_stmt 1              ; standard.py:263:15 @[ standard.py:293:36 @[ attention_fwd.py:42:38 ] ]
	v_add_f32_e32 v73, v64, v69
	s_delay_alu instid0(VALU_DEP_1) | instskip(NEXT) | instid1(VALU_DEP_1)
	v_add_f32_e32 v73, v65, v73
	v_add_f32_e32 v73, v70, v73
	s_delay_alu instid0(VALU_DEP_1) | instskip(SKIP_1) | instid1(VALU_DEP_2)
	v_dual_add_f32 v73, v66, v73 :: v_dual_sub_f32 v80, v80, v68
.Ltmp69:
	.loc	1 40 24                         ; attention_fwd.py:40:24
	v_sub_f32_e32 v79, v79, v68
.Ltmp70:
	.loc	2 263 15                        ; standard.py:263:15 @[ standard.py:293:36 @[ attention_fwd.py:42:38 ] ]
	v_dual_add_f32 v73, v67, v73 :: v_dual_sub_f32 v84, v84, v68
	s_delay_alu instid0(VALU_DEP_1) | instskip(NEXT) | instid1(VALU_DEP_1)
	v_add_f32_e32 v73, v71, v73
	v_dual_add_f32 v73, v72, v73 :: v_dual_mul_f32 v78, 0x3fb8aa3b, v80
	s_delay_alu instid0(VALU_DEP_1) | instskip(NEXT) | instid1(VALU_DEP_2)
	v_add_f32_e32 v73, v86, v73
.Ltmp71:
	.loc	1 40 19                         ; attention_fwd.py:40:19
	v_cmp_gt_f32_e32 vcc_lo, 0xc2fc0000, v78
	v_dual_mul_f32 v78, 0x3fb8aa3b, v82 :: v_dual_sub_f32 v83, v83, v68
	s_delay_alu instid0(VALU_DEP_3) | instskip(NEXT) | instid1(VALU_DEP_2)
	v_dual_mul_f32 v76, 0x3fb8aa3b, v79 :: v_dual_add_f32 v73, v87, v73
	v_cmp_gt_f32_e64 s1, 0xc2fc0000, v78
	s_wait_alu depctr_va_vcc(0)
	v_cndmask_b32_e64 v78, 0, 0xffffffc0, vcc_lo
	s_delay_alu instid0(VALU_DEP_3) | instskip(SKIP_2) | instid1(VALU_DEP_2)
	v_cmp_gt_f32_e64 s0, 0xc2fc0000, v76
.Ltmp72:
	.loc	2 263 15                        ; standard.py:263:15 @[ standard.py:293:36 @[ attention_fwd.py:42:38 ] ]
	v_add_f32_e32 v73, v91, v73
.Ltmp73:
	.loc	1 40 19                         ; attention_fwd.py:40:19
	s_wait_alu depctr_va_sdst(0)
	v_cndmask_b32_e64 v76, 0, 0x42800000, s0
	.loc	1 40 24 is_stmt 0               ; attention_fwd.py:40:24
	v_sub_f32_e32 v143, v92, v68
	.loc	1 40 19                         ; attention_fwd.py:40:19
	v_cndmask_b32_e64 v74, 0, 0xffffffc0, s0
	s_delay_alu instid0(VALU_DEP_3) | instskip(NEXT) | instid1(VALU_DEP_1)
.Ltmp74:
	.loc	2 263 15 is_stmt 1              ; standard.py:263:15 @[ standard.py:293:36 @[ attention_fwd.py:42:38 ] ]
	v_dual_add_f32 v73, v93, v73 :: v_dual_fmac_f32 v76, 0x3fb8aa3b, v79
	v_add_f32_e32 v73, v134, v73
	s_delay_alu instid0(VALU_DEP_2) | instskip(SKIP_1) | instid1(VALU_DEP_1)
.Ltmp75:
	.loc	1 40 19                         ; attention_fwd.py:40:19
	v_exp_f32_e32 v75, v76
	v_cndmask_b32_e64 v76, 0, 0x42800000, vcc_lo
	v_fmac_f32_e32 v76, 0x3fb8aa3b, v80
	v_mul_f32_e32 v80, 0x3fb8aa3b, v143
	s_delay_alu instid0(TRANS32_DEP_1) | instskip(SKIP_1) | instid1(VALU_DEP_4)
	v_ldexp_f32 v137, v75, v74
	v_cndmask_b32_e64 v75, 0, 0x42800000, s1
	v_exp_f32_e32 v74, v76
	s_delay_alu instid0(VALU_DEP_1) | instskip(SKIP_2) | instid1(VALU_DEP_2)
	v_fmac_f32_e32 v75, 0x3fb8aa3b, v82
	v_exp_f32_e32 v88, v88
	v_mul_f32_e32 v82, 0x3fb8aa3b, v145
	v_exp_f32_e32 v75, v75
	s_delay_alu instid0(TRANS32_DEP_2) | instskip(SKIP_1) | instid1(TRANS32_DEP_3)
	v_ldexp_f32 v127, v88, v77
	v_mul_f32_e32 v77, 0x3fb8aa3b, v81
	v_ldexp_f32 v88, v74, v78
	s_delay_alu instid0(VALU_DEP_3) | instskip(NEXT) | instid1(VALU_DEP_3)
	v_dual_mul_f32 v78, 0x3fb8aa3b, v84 :: v_dual_add_f32 v73, v127, v73
	v_cmp_gt_f32_e64 s0, 0xc2fc0000, v77
	s_wait_alu depctr_va_sdst(0)
	s_delay_alu instid0(VALU_DEP_1) | instskip(SKIP_3) | instid1(VALU_DEP_4)
	v_cndmask_b32_e64 v77, 0, 0x42800000, s0
	v_cndmask_b32_e64 v74, 0, 0xffffffc0, s0
	v_cmp_gt_f32_e64 s0, 0xc2fc0000, v78
	v_mul_f32_e32 v78, 0x3fb8aa3b, v85
	v_fmac_f32_e32 v77, 0x3fb8aa3b, v81
	v_mul_f32_e32 v81, 0x3fb8aa3b, v144
	s_delay_alu instid0(VALU_DEP_2) | instskip(NEXT) | instid1(TRANS32_DEP_1)
	v_exp_f32_e32 v77, v77
	v_ldexp_f32 v89, v77, v74
	s_wait_alu depctr_va_sdst(0)
	v_cndmask_b32_e64 v77, 0, 0x42800000, s0
	v_mul_f32_e32 v76, 0x3fb8aa3b, v83
	v_cndmask_b32_e64 v74, 0, 0xffffffc0, s1
	s_delay_alu instid0(VALU_DEP_3) | instskip(NEXT) | instid1(VALU_DEP_3)
	v_fmac_f32_e32 v77, 0x3fb8aa3b, v84
	v_cmp_gt_f32_e32 vcc_lo, 0xc2fc0000, v76
	s_delay_alu instid0(VALU_DEP_3)
	v_ldexp_f32 v90, v75, v74
	s_wait_alu depctr_va_vcc(0)
	v_cndmask_b32_e64 v76, 0, 0x42800000, vcc_lo
	v_cndmask_b32_e64 v74, 0, 0xffffffc0, vcc_lo
	v_cmp_gt_f32_e32 vcc_lo, 0xc2fc0000, v78
	v_mul_f32_e32 v78, 0x3fb8aa3b, v136
	s_wait_alu depctr_va_vcc(0)
	v_cndmask_b32_e64 v75, 0, 0x42800000, vcc_lo
	v_fmac_f32_e32 v76, 0x3fb8aa3b, v83
	s_delay_alu instid0(VALU_DEP_3) | instskip(SKIP_1) | instid1(VALU_DEP_4)
	v_cmp_gt_f32_e64 s1, 0xc2fc0000, v78
	v_cndmask_b32_e64 v78, 0, 0xffffffc0, s0
	v_fmac_f32_e32 v75, 0x3fb8aa3b, v85
	s_delay_alu instid0(VALU_DEP_4) | instskip(NEXT) | instid1(VALU_DEP_1)
	v_exp_f32_e32 v76, v76
	v_exp_f32_e32 v75, v75
	s_delay_alu instid0(TRANS32_DEP_2) | instskip(SKIP_4) | instid1(VALU_DEP_2)
	v_ldexp_f32 v92, v76, v74
	v_exp_f32_e32 v74, v77
	v_mul_f32_e32 v77, 0x3fb8aa3b, v138
	s_wait_alu depctr_va_sdst(0)
	v_cndmask_b32_e64 v76, 0, 0x42800000, s1
	v_cmp_gt_f32_e64 s0, 0xc2fc0000, v77
	s_delay_alu instid0(VALU_DEP_2) | instskip(NEXT) | instid1(TRANS32_DEP_1)
	v_fmac_f32_e32 v76, 0x3fb8aa3b, v136
	v_ldexp_f32 v94, v74, v78
	s_wait_alu depctr_va_sdst(0)
	s_delay_alu instid0(VALU_DEP_3) | instskip(SKIP_2) | instid1(VALU_DEP_2)
	v_cndmask_b32_e64 v77, 0, 0x42800000, s0
	v_cndmask_b32_e64 v74, 0, 0xffffffc0, vcc_lo
	v_exp_f32_e32 v76, v76
	v_dual_mul_f32 v78, 0x3fb8aa3b, v139 :: v_dual_fmac_f32 v77, 0x3fb8aa3b, v138
	s_delay_alu instid0(VALU_DEP_2) | instskip(SKIP_1) | instid1(VALU_DEP_3)
	v_ldexp_f32 v95, v75, v74
	v_cndmask_b32_e64 v74, 0, 0xffffffc0, s1
	v_cmp_gt_f32_e32 vcc_lo, 0xc2fc0000, v78
	v_mul_f32_e32 v78, 0x3fb8aa3b, v140
	v_exp_f32_e32 v75, v77
	s_delay_alu instid0(TRANS32_DEP_2) | instid1(VALU_DEP_3)
	v_ldexp_f32 v133, v76, v74
	v_cndmask_b32_e64 v74, 0, 0xffffffc0, s0
	s_delay_alu instid0(VALU_DEP_3)
	v_cmp_gt_f32_e64 s0, 0xc2fc0000, v78
	s_wait_alu depctr_va_vcc(0)
	v_cndmask_b32_e64 v77, 0, 0x42800000, vcc_lo
	v_mul_f32_e32 v78, 0x3fb8aa3b, v141
	s_wait_alu depctr_va_sdst(0)
	v_cndmask_b32_e64 v76, 0, 0x42800000, s0
.Ltmp76:
	.loc	2 263 15                        ; standard.py:263:15 @[ standard.py:293:36 @[ attention_fwd.py:42:38 ] ]
	v_add_f32_e32 v73, v135, v73
.Ltmp77:
	.loc	1 40 19                         ; attention_fwd.py:40:19
	v_fmac_f32_e32 v77, 0x3fb8aa3b, v139
	v_ldexp_f32 v136, v75, v74
	v_cmp_gt_f32_e64 s1, 0xc2fc0000, v78
	s_delay_alu instid0(VALU_DEP_4) | instskip(NEXT) | instid1(VALU_DEP_4)
	v_dual_fmac_f32 v76, 0x3fb8aa3b, v140 :: v_dual_add_f32 v73, v137, v73
	v_exp_f32_e32 v74, v77
	v_mul_f32_e32 v77, 0x3fb8aa3b, v142
	s_wait_alu depctr_va_sdst(0)
	v_cndmask_b32_e64 v75, 0, 0x42800000, s1
	v_cndmask_b32_e64 v78, 0, 0xffffffc0, vcc_lo
.Ltmp78:
	.loc	2 263 15                        ; standard.py:263:15 @[ standard.py:293:36 @[ attention_fwd.py:42:38 ] ]
	v_add_f32_e32 v73, v88, v73
.Ltmp79:
	.loc	1 40 19                         ; attention_fwd.py:40:19
	v_exp_f32_e32 v76, v76
	v_cmp_gt_f32_e32 vcc_lo, 0xc2fc0000, v77
	v_fmac_f32_e32 v75, 0x3fb8aa3b, v141
	s_delay_alu instid0(VALU_DEP_3)
.Ltmp80:
	.loc	2 263 15                        ; standard.py:263:15 @[ standard.py:293:36 @[ attention_fwd.py:42:38 ] ]
	v_add_f32_e32 v73, v89, v73
.Ltmp81:
	.loc	1 40 19                         ; attention_fwd.py:40:19
	v_ldexp_f32 v78, v74, v78
	s_wait_alu depctr_va_vcc(0)
	v_cndmask_b32_e64 v77, 0, 0x42800000, vcc_lo
	v_cndmask_b32_e64 v74, 0, 0xffffffc0, s0
	v_exp_f32_e32 v75, v75
.Ltmp82:
	.loc	2 263 15                        ; standard.py:263:15 @[ standard.py:293:36 @[ attention_fwd.py:42:38 ] ]
	v_add_f32_e32 v73, v90, v73
.Ltmp83:
	.loc	1 40 19                         ; attention_fwd.py:40:19
	v_cmp_gt_f32_e64 s0, 0xc2fc0000, v80
	v_fmac_f32_e32 v77, 0x3fb8aa3b, v142
	v_ldexp_f32 v79, v76, v74
	v_cndmask_b32_e64 v74, 0, 0xffffffc0, s1
.Ltmp84:
	.loc	2 263 15                        ; standard.py:263:15 @[ standard.py:293:36 @[ attention_fwd.py:42:38 ] ]
	v_add_f32_e32 v73, v92, v73
.Ltmp85:
	.loc	1 40 19                         ; attention_fwd.py:40:19
	v_cmp_gt_f32_e64 s1, 0xc2fc0000, v82
	v_exp_f32_e32 v76, v77
	s_wait_alu depctr_va_sdst(0)
	v_cndmask_b32_e64 v77, 0, 0x42800000, s0
	v_ldexp_f32 v80, v75, v74
.Ltmp86:
	.loc	2 263 15                        ; standard.py:263:15 @[ standard.py:293:36 @[ attention_fwd.py:42:38 ] ]
	v_add_f32_e32 v73, v94, v73
.Ltmp87:
	.loc	1 40 19                         ; attention_fwd.py:40:19
	v_cndmask_b32_e64 v74, 0, 0xffffffc0, vcc_lo
	v_cmp_gt_f32_e32 vcc_lo, 0xc2fc0000, v81
	v_fmac_f32_e32 v77, 0x3fb8aa3b, v143
	v_cndmask_b32_e64 v82, 0, 0xffffffc0, s0
.Ltmp88:
	.loc	2 263 15                        ; standard.py:263:15 @[ standard.py:293:36 @[ attention_fwd.py:42:38 ] ]
	v_add_f32_e32 v73, v95, v73
.Ltmp89:
	.loc	1 40 19                         ; attention_fwd.py:40:19
	s_wait_alu depctr_va_vcc(0)
	v_cndmask_b32_e64 v75, 0, 0x42800000, vcc_lo
	v_ldexp_f32 v81, v76, v74
	v_exp_f32_e32 v74, v77
.Ltmp90:
	.loc	2 263 15                        ; standard.py:263:15 @[ standard.py:293:36 @[ attention_fwd.py:42:38 ] ]
	v_add_f32_e32 v73, v133, v73
.Ltmp91:
	.loc	1 40 19                         ; attention_fwd.py:40:19
	v_mul_f32_e32 v77, 0x3fb8aa3b, v146
	v_fmac_f32_e32 v75, 0x3fb8aa3b, v144
	v_cndmask_b32_e64 v76, 0, 0x42800000, s1
	s_delay_alu instid0(VALU_DEP_4) | instskip(NEXT) | instid1(VALU_DEP_4)
.Ltmp92:
	.loc	2 263 15                        ; standard.py:263:15 @[ standard.py:293:36 @[ attention_fwd.py:42:38 ] ]
	v_add_f32_e32 v73, v136, v73
.Ltmp93:
	.loc	1 40 19                         ; attention_fwd.py:40:19
	v_cmp_gt_f32_e64 s0, 0xc2fc0000, v77
	s_delay_alu instid0(VALU_DEP_4) | instskip(NEXT) | instid1(VALU_DEP_3)
	v_exp_f32_e32 v75, v75
	v_fmac_f32_e32 v76, 0x3fb8aa3b, v145
	s_delay_alu instid0(TRANS32_DEP_2)
	v_ldexp_f32 v82, v74, v82
.Ltmp94:
	.loc	2 263 15                        ; standard.py:263:15 @[ standard.py:293:36 @[ attention_fwd.py:42:38 ] ]
	v_add_f32_e32 v73, v78, v73
.Ltmp95:
	.loc	1 40 19                         ; attention_fwd.py:40:19
	s_wait_alu depctr_va_sdst(0)
	v_cndmask_b32_e64 v77, 0, 0x42800000, s0
	v_cndmask_b32_e64 v74, 0, 0xffffffc0, vcc_lo
	v_exp_f32_e32 v76, v76
	.loc	1 46 37                         ; attention_fwd.py:46:37
	s_and_not1_b32 vcc_lo, exec_lo, s3
.Ltmp96:
	.loc	2 263 15                        ; standard.py:263:15 @[ standard.py:293:36 @[ attention_fwd.py:42:38 ] ]
	v_add_f32_e32 v73, v79, v73
.Ltmp97:
	.loc	1 40 19                         ; attention_fwd.py:40:19
	v_fmac_f32_e32 v77, 0x3fb8aa3b, v146
	v_ldexp_f32 v83, v75, v74
	v_cndmask_b32_e64 v74, 0, 0xffffffc0, s1
	s_delay_alu instid0(VALU_DEP_4) | instskip(NEXT) | instid1(VALU_DEP_4)
.Ltmp98:
	.loc	2 263 15                        ; standard.py:263:15 @[ standard.py:293:36 @[ attention_fwd.py:42:38 ] ]
	v_add_f32_e32 v73, v80, v73
.Ltmp99:
	.loc	1 40 19                         ; attention_fwd.py:40:19
	v_exp_f32_e32 v75, v77
	s_delay_alu instid0(TRANS32_DEP_2) | instid1(VALU_DEP_2)
	v_ldexp_f32 v84, v76, v74
	v_cndmask_b32_e64 v74, 0, 0xffffffc0, s0
	s_delay_alu instid0(VALU_DEP_3) | instskip(NEXT) | instid1(VALU_DEP_1)
.Ltmp100:
	.loc	2 263 15                        ; standard.py:263:15 @[ standard.py:293:36 @[ attention_fwd.py:42:38 ] ]
	v_add_f32_e32 v73, v81, v73
	v_add_f32_e32 v73, v82, v73
	s_delay_alu instid0(TRANS32_DEP_1) | instid1(VALU_DEP_3)
.Ltmp101:
	.loc	1 40 19                         ; attention_fwd.py:40:19
	v_ldexp_f32 v85, v75, v74
	s_delay_alu instid0(VALU_DEP_2) | instskip(NEXT) | instid1(VALU_DEP_1)
.Ltmp102:
	.loc	2 263 15                        ; standard.py:263:15 @[ standard.py:293:36 @[ attention_fwd.py:42:38 ] ]
	v_add_f32_e32 v73, v83, v73
	v_add_f32_e32 v73, v84, v73
	s_delay_alu instid0(VALU_DEP_1) | instskip(NEXT) | instid1(VALU_DEP_1)
	v_add_f32_e32 v76, v85, v73
.Ltmp103:
	.loc	2 293 36                        ; standard.py:293:36 @[ attention_fwd.py:42:38 ]
	v_permlanex16_b32 v77, v76, s6, 0xfedcba98 op_sel:[1,0]
	s_wait_alu depctr_sa_sdst(0)
	s_cbranch_vccnz .LBB0_393
.Ltmp104:
; %bb.392:
	.loc	1 46 37                         ; attention_fwd.py:46:37
	v_bfe_u32 v73, v72, 16, 1
	v_cmp_o_f32_e32 vcc_lo, v72, v72
	v_cmp_o_f32_e64 s0, v66, v66
	v_cmp_o_f32_e64 s1, v67, v67
	;; [unrolled: 1-line block ×3, first 2 shown]
	v_add3_u32 v73, v72, v73, 0x7fff
	v_bfe_u32 v72, v66, 16, 1
	.loc	1 45 20                         ; attention_fwd.py:45:20
	v_lshl_add_u32 v130, v129, 1, v130
	.loc	1 41 29                         ; attention_fwd.py:41:29
	v_sub_f32_e32 v68, v132, v68
	s_delay_alu instid0(VALU_DEP_4) | instskip(NEXT) | instid1(VALU_DEP_4)
	.loc	1 46 37                         ; attention_fwd.py:46:37
	v_lshrrev_b32_e32 v73, 16, v73
	v_add3_u32 v72, v66, v72, 0x7fff
	v_bfe_u32 v66, v67, 16, 1
	s_delay_alu instid0(VALU_DEP_2) | instskip(NEXT) | instid1(VALU_DEP_2)
	v_lshrrev_b32_e32 v72, 16, v72
	v_add3_u32 v66, v67, v66, 0x7fff
	v_bfe_u32 v67, v71, 16, 1
	s_wait_alu depctr_va_sdst(0)
	s_delay_alu instid0(VALU_DEP_3) | instskip(SKIP_1) | instid1(VALU_DEP_3)
	v_cndmask_b32_e64 v72, 0x7fff, v72, s0
	v_cmp_o_f32_e64 s0, v65, v65
	v_add3_u32 v67, v71, v67, 0x7fff
	s_wait_alu depctr_va_vcc(0)
	v_cndmask_b32_e32 v71, 0x7fff, v73, vcc_lo
	v_cmp_o_f32_e32 vcc_lo, v70, v70
	v_lshrrev_b32_e32 v66, 16, v66
	v_lshrrev_b32_e32 v67, 16, v67
	s_delay_alu instid0(VALU_DEP_2) | instskip(SKIP_1) | instid1(VALU_DEP_3)
	v_cndmask_b32_e64 v66, 0x7fff, v66, s1
	v_cmp_o_f32_e64 s1, v127, v127
	v_cndmask_b32_e64 v67, 0x7fff, v67, s2
	v_cmp_o_f32_e64 s2, v135, v135
	s_delay_alu instid0(VALU_DEP_4) | instskip(NEXT) | instid1(VALU_DEP_3)
	v_perm_b32 v66, v66, v72, 0x5040100
	v_perm_b32 v67, v71, v67, 0x5040100
	v_bfe_u32 v71, v70, 16, 1
	s_delay_alu instid0(VALU_DEP_1) | instskip(SKIP_1) | instid1(VALU_DEP_2)
	v_add3_u32 v71, v70, v71, 0x7fff
	v_bfe_u32 v70, v65, 16, 1
	v_lshrrev_b32_e32 v71, 16, v71
	s_delay_alu instid0(VALU_DEP_2) | instskip(NEXT) | instid1(VALU_DEP_1)
	v_add3_u32 v70, v65, v70, 0x7fff
	v_lshrrev_b32_e32 v70, 16, v70
	s_wait_alu depctr_va_sdst(0)
	s_delay_alu instid0(VALU_DEP_1) | instskip(SKIP_4) | instid1(VALU_DEP_3)
	v_cndmask_b32_e64 v65, 0x7fff, v70, s0
	s_wait_alu depctr_va_vcc(0)
	v_cndmask_b32_e32 v70, 0x7fff, v71, vcc_lo
	v_cmp_o_f32_e32 vcc_lo, v69, v69
	v_cmp_o_f32_e64 s0, v64, v64
	v_perm_b32 v65, v70, v65, 0x5040100
	v_bfe_u32 v70, v69, 16, 1
	s_delay_alu instid0(VALU_DEP_1) | instskip(SKIP_1) | instid1(VALU_DEP_2)
	v_add3_u32 v70, v69, v70, 0x7fff
	v_bfe_u32 v69, v64, 16, 1
	v_lshrrev_b32_e32 v70, 16, v70
	s_delay_alu instid0(VALU_DEP_2) | instskip(NEXT) | instid1(VALU_DEP_1)
	v_add3_u32 v69, v64, v69, 0x7fff
	v_lshrrev_b32_e32 v69, 16, v69
	s_wait_alu depctr_va_sdst(0)
	s_delay_alu instid0(VALU_DEP_1)
	v_cndmask_b32_e64 v64, 0x7fff, v69, s0
	s_wait_alu depctr_va_vcc(0)
	v_cndmask_b32_e32 v69, 0x7fff, v70, vcc_lo
	.loc	1 45 20                         ; attention_fwd.py:45:20
	ds_load_u16 v71, v130 offset:1536
	ds_load_u16 v75, v130 offset:1568
	;; [unrolled: 1-line block ×16, first 2 shown]
	.loc	1 46 37                         ; attention_fwd.py:46:37
	v_cmp_o_f32_e64 s0, v134, v134
	v_perm_b32 v64, v69, v64, 0x5040100
	.loc	1 41 23                         ; attention_fwd.py:41:23
	v_mul_f32_e32 v69, 0x3fb8aa3b, v68
	s_delay_alu instid0(VALU_DEP_1) | instskip(SKIP_2) | instid1(VALU_DEP_1)
	v_cmp_gt_f32_e32 vcc_lo, 0xc2fc0000, v69
	s_wait_alu depctr_va_vcc(0)
	v_cndmask_b32_e64 v69, 0, 0x42800000, vcc_lo
	v_fmac_f32_e32 v69, 0x3fb8aa3b, v68
	s_delay_alu instid0(VALU_DEP_1)
	v_exp_f32_e32 v68, v69
	v_cndmask_b32_e64 v69, 0, 0xffffffc0, vcc_lo
	.loc	1 46 37                         ; attention_fwd.py:46:37
	v_cmp_o_f32_e32 vcc_lo, v137, v137
	s_delay_alu instid0(TRANS32_DEP_1) | instid1(VALU_DEP_2)
	.loc	1 41 23                         ; attention_fwd.py:41:23
	v_ldexp_f32 v132, v68, v69
	.loc	1 45 20                         ; attention_fwd.py:45:20
	ds_load_u16 v69, v130 offset:512
	ds_load_u16 v68, v130
	ds_load_u16 v73, v130 offset:544
	ds_load_u16 v139, v130 offset:576
	;; [unrolled: 1-line block ×7, first 2 shown]
	s_wait_dscnt 0x8
	ds_load_u16_d16_hi v69, v130 offset:768
	ds_load_u16 v72, v130 offset:32
	ds_load_u16 v138, v130 offset:64
	;; [unrolled: 1-line block ×7, first 2 shown]
	s_wait_dscnt 0xf
	ds_load_u16_d16_hi v68, v130 offset:256
	.loc	1 43 20                         ; attention_fwd.py:43:20
	v_mul_f32_e32 v7, v7, v132
	v_mul_f32_e32 v6, v6, v132
	;; [unrolled: 1-line block ×7, first 2 shown]
	.loc	1 45 20                         ; attention_fwd.py:45:20
	ds_load_u16_d16_hi v71, v130 offset:1792
	ds_load_u16_d16_hi v75, v130 offset:1824
	;; [unrolled: 1-line block ×16, first 2 shown]
	s_wait_dscnt 0x1f
	ds_load_u16_d16_hi v73, v130 offset:800
	s_wait_dscnt 0x1f
	ds_load_u16_d16_hi v139, v130 offset:832
	;; [unrolled: 2-line block ×14, first 2 shown]
	.loc	1 43 20                         ; attention_fwd.py:43:20
	v_mul_f32_e32 v0, v0, v132
	v_mul_f32_e32 v15, v15, v132
	;; [unrolled: 1-line block ×57, first 2 shown]
	.loc	1 46 37                         ; attention_fwd.py:46:37
	s_wait_dscnt 0x15
	v_wmma_f32_16x16x16_bf16 v[0:7], v[68:71], v[64:67], v[0:7]
	s_wait_dscnt 0x6
	v_wmma_f32_16x16x16_bf16 v[8:15], v[72:75], v[64:67], v[8:15]
	;; [unrolled: 2-line block ×8, first 2 shown]
	v_bfe_u32 v64, v137, 16, 1
	v_bfe_u32 v65, v134, 16, 1
	;; [unrolled: 1-line block ×5, first 2 shown]
	v_add3_u32 v64, v137, v64, 0x7fff
	v_add3_u32 v65, v134, v65, 0x7fff
	;; [unrolled: 1-line block ×5, first 2 shown]
	v_lshrrev_b32_e32 v64, 16, v64
	v_lshrrev_b32_e32 v65, 16, v65
	;; [unrolled: 1-line block ×5, first 2 shown]
	s_wait_alu depctr_va_vcc(0)
	v_cndmask_b32_e32 v64, 0x7fff, v64, vcc_lo
	s_wait_alu depctr_va_sdst(0)
	v_cndmask_b32_e64 v65, 0x7fff, v65, s0
	v_cndmask_b32_e64 v66, 0x7fff, v66, s1
	;; [unrolled: 1-line block ×3, first 2 shown]
	v_cmp_o_f32_e32 vcc_lo, v93, v93
	v_cmp_o_f32_e64 s0, v91, v91
	v_cmp_o_f32_e64 s1, v95, v95
	v_perm_b32 v66, v66, v65, 0x5040100
	v_perm_b32 v67, v64, v67, 0x5040100
	v_bfe_u32 v64, v93, 16, 1
	v_bfe_u32 v65, v91, 16, 1
	v_cmp_o_f32_e64 s2, v133, v133
	s_delay_alu instid0(VALU_DEP_3) | instskip(NEXT) | instid1(VALU_DEP_3)
	v_add3_u32 v64, v93, v64, 0x7fff
	v_add3_u32 v65, v91, v65, 0x7fff
	s_delay_alu instid0(VALU_DEP_2) | instskip(NEXT) | instid1(VALU_DEP_2)
	v_lshrrev_b32_e32 v64, 16, v64
	v_lshrrev_b32_e32 v65, 16, v65
	s_wait_alu depctr_va_vcc(0)
	s_delay_alu instid0(VALU_DEP_2) | instskip(SKIP_1) | instid1(VALU_DEP_2)
	v_cndmask_b32_e32 v64, 0x7fff, v64, vcc_lo
	s_wait_alu depctr_va_sdst(0)
	v_cndmask_b32_e64 v65, 0x7fff, v65, s0
	v_cmp_o_f32_e32 vcc_lo, v87, v87
	v_cmp_o_f32_e64 s0, v86, v86
	s_delay_alu instid0(VALU_DEP_3) | instskip(SKIP_2) | instid1(VALU_DEP_3)
	v_perm_b32 v65, v64, v65, 0x5040100
	v_bfe_u32 v64, v87, 16, 1
	s_wait_alu depctr_va_sdst(0)
	v_cndmask_b32_e64 v68, 0x7fff, v68, s0
	v_cmp_o_f32_e64 s0, v94, v94
	s_delay_alu instid0(VALU_DEP_3) | instskip(NEXT) | instid1(VALU_DEP_1)
	v_add3_u32 v64, v87, v64, 0x7fff
	v_lshrrev_b32_e32 v64, 16, v64
	s_wait_alu depctr_va_vcc(0)
	s_delay_alu instid0(VALU_DEP_1) | instskip(SKIP_1) | instid1(VALU_DEP_2)
	v_cndmask_b32_e32 v64, 0x7fff, v64, vcc_lo
	v_cmp_o_f32_e32 vcc_lo, v136, v136
	v_perm_b32 v64, v64, v68, 0x5040100
	.loc	1 45 20                         ; attention_fwd.py:45:20
	ds_load_u16 v70, v130 offset:5120
	ds_load_u16 v71, v130 offset:5632
	;; [unrolled: 1-line block ×32, first 2 shown]
	s_wait_dscnt 0x1e
	ds_load_u16_d16_hi v71, v130 offset:5888
	s_wait_dscnt 0x1e
	ds_load_u16_d16_hi v75, v130 offset:5920
	;; [unrolled: 2-line block ×8, first 2 shown]
	ds_load_u16_d16_hi v70, v130 offset:5376
	ds_load_u16_d16_hi v74, v130 offset:5408
	;; [unrolled: 1-line block ×7, first 2 shown]
	s_wait_dscnt 0x1f
	ds_load_u16_d16_hi v159, v130 offset:5600
	s_wait_dscnt 0x1f
	ds_load_u16_d16_hi v69, v130 offset:4864
	;; [unrolled: 2-line block ×17, first 2 shown]
	.loc	1 46 37                         ; attention_fwd.py:46:37
	s_wait_dscnt 0x7
	v_wmma_f32_16x16x16_bf16 v[0:7], v[68:71], v[64:67], v[0:7]
	s_wait_dscnt 0x6
	v_wmma_f32_16x16x16_bf16 v[8:15], v[72:75], v[64:67], v[8:15]
	s_wait_dscnt 0x5
	v_wmma_f32_16x16x16_bf16 v[16:23], v[137:140], v[64:67], v[16:23]
	s_wait_dscnt 0x4
	v_wmma_f32_16x16x16_bf16 v[24:31], v[141:144], v[64:67], v[24:31]
	s_wait_dscnt 0x3
	v_wmma_f32_16x16x16_bf16 v[32:39], v[145:148], v[64:67], v[32:39]
	s_wait_dscnt 0x2
	v_wmma_f32_16x16x16_bf16 v[40:47], v[149:152], v[64:67], v[40:47]
	s_wait_dscnt 0x1
	v_wmma_f32_16x16x16_bf16 v[48:55], v[153:156], v[64:67], v[48:55]
	s_wait_dscnt 0x0
	v_wmma_f32_16x16x16_bf16 v[56:63], v[157:160], v[64:67], v[56:63]
	v_bfe_u32 v64, v136, 16, 1
	v_bfe_u32 v65, v94, 16, 1
	;; [unrolled: 1-line block ×5, first 2 shown]
	v_add3_u32 v64, v136, v64, 0x7fff
	v_add3_u32 v65, v94, v65, 0x7fff
	v_add3_u32 v66, v95, v66, 0x7fff
	v_add3_u32 v67, v133, v67, 0x7fff
	v_add3_u32 v68, v88, v68, 0x7fff
	v_lshrrev_b32_e32 v64, 16, v64
	v_lshrrev_b32_e32 v65, 16, v65
	;; [unrolled: 1-line block ×5, first 2 shown]
	s_wait_alu depctr_va_vcc(0)
	v_cndmask_b32_e32 v64, 0x7fff, v64, vcc_lo
	s_wait_alu depctr_va_sdst(0)
	v_cndmask_b32_e64 v65, 0x7fff, v65, s0
	v_cndmask_b32_e64 v66, 0x7fff, v66, s1
	;; [unrolled: 1-line block ×3, first 2 shown]
	v_cmp_o_f32_e32 vcc_lo, v92, v92
	v_cmp_o_f32_e64 s0, v90, v90
	v_cmp_o_f32_e64 s1, v83, v83
	v_perm_b32 v66, v66, v65, 0x5040100
	v_perm_b32 v67, v64, v67, 0x5040100
	v_bfe_u32 v64, v92, 16, 1
	v_bfe_u32 v65, v90, 16, 1
	v_cmp_o_f32_e64 s2, v84, v84
	s_delay_alu instid0(VALU_DEP_3) | instskip(NEXT) | instid1(VALU_DEP_3)
	v_add3_u32 v64, v92, v64, 0x7fff
	v_add3_u32 v65, v90, v65, 0x7fff
	s_delay_alu instid0(VALU_DEP_2) | instskip(NEXT) | instid1(VALU_DEP_2)
	v_lshrrev_b32_e32 v64, 16, v64
	v_lshrrev_b32_e32 v65, 16, v65
	s_wait_alu depctr_va_vcc(0)
	s_delay_alu instid0(VALU_DEP_2) | instskip(SKIP_1) | instid1(VALU_DEP_2)
	v_cndmask_b32_e32 v64, 0x7fff, v64, vcc_lo
	s_wait_alu depctr_va_sdst(0)
	v_cndmask_b32_e64 v65, 0x7fff, v65, s0
	v_cmp_o_f32_e32 vcc_lo, v89, v89
	v_cmp_o_f32_e64 s0, v88, v88
	s_delay_alu instid0(VALU_DEP_3) | instskip(SKIP_2) | instid1(VALU_DEP_3)
	v_perm_b32 v65, v64, v65, 0x5040100
	v_bfe_u32 v64, v89, 16, 1
	s_wait_alu depctr_va_sdst(0)
	v_cndmask_b32_e64 v68, 0x7fff, v68, s0
	v_cmp_o_f32_e64 s0, v82, v82
	s_delay_alu instid0(VALU_DEP_3) | instskip(NEXT) | instid1(VALU_DEP_1)
	v_add3_u32 v64, v89, v64, 0x7fff
	v_lshrrev_b32_e32 v64, 16, v64
	s_wait_alu depctr_va_vcc(0)
	s_delay_alu instid0(VALU_DEP_1) | instskip(SKIP_1) | instid1(VALU_DEP_2)
	v_cndmask_b32_e32 v64, 0x7fff, v64, vcc_lo
	v_cmp_o_f32_e32 vcc_lo, v85, v85
	v_perm_b32 v64, v64, v68, 0x5040100
	.loc	1 45 20                         ; attention_fwd.py:45:20
	ds_load_u16 v70, v130 offset:9216
	ds_load_u16 v71, v130 offset:9728
	;; [unrolled: 1-line block ×32, first 2 shown]
	s_wait_dscnt 0x1e
	ds_load_u16_d16_hi v71, v130 offset:9984
	s_wait_dscnt 0x1e
	ds_load_u16_d16_hi v75, v130 offset:10016
	;; [unrolled: 2-line block ×8, first 2 shown]
	ds_load_u16_d16_hi v70, v130 offset:9472
	ds_load_u16_d16_hi v74, v130 offset:9504
	;; [unrolled: 1-line block ×7, first 2 shown]
	s_wait_dscnt 0x1f
	ds_load_u16_d16_hi v147, v130 offset:9696
	s_wait_dscnt 0x1f
	ds_load_u16_d16_hi v69, v130 offset:8960
	;; [unrolled: 2-line block ×17, first 2 shown]
	.loc	1 46 37                         ; attention_fwd.py:46:37
	s_wait_dscnt 0x7
	v_wmma_f32_16x16x16_bf16 v[0:7], v[68:71], v[64:67], v[0:7]
	s_wait_dscnt 0x6
	v_wmma_f32_16x16x16_bf16 v[8:15], v[72:75], v[64:67], v[8:15]
	;; [unrolled: 2-line block ×8, first 2 shown]
	v_bfe_u32 v64, v85, 16, 1
	v_bfe_u32 v65, v82, 16, 1
	;; [unrolled: 1-line block ×5, first 2 shown]
	v_add3_u32 v64, v85, v64, 0x7fff
	v_add3_u32 v65, v82, v65, 0x7fff
	;; [unrolled: 1-line block ×5, first 2 shown]
	v_lshrrev_b32_e32 v64, 16, v64
	v_lshrrev_b32_e32 v65, 16, v65
	;; [unrolled: 1-line block ×5, first 2 shown]
	s_wait_alu depctr_va_vcc(0)
	v_cndmask_b32_e32 v64, 0x7fff, v64, vcc_lo
	s_wait_alu depctr_va_sdst(0)
	v_cndmask_b32_e64 v65, 0x7fff, v65, s0
	v_cndmask_b32_e64 v66, 0x7fff, v66, s1
	v_cndmask_b32_e64 v67, 0x7fff, v67, s2
	v_cmp_o_f32_e32 vcc_lo, v81, v81
	v_cmp_o_f32_e64 s0, v80, v80
	s_delay_alu instid0(VALU_DEP_4) | instskip(NEXT) | instid1(VALU_DEP_4)
	v_perm_b32 v66, v66, v65, 0x5040100
	v_perm_b32 v67, v64, v67, 0x5040100
	v_bfe_u32 v64, v81, 16, 1
	v_bfe_u32 v65, v80, 16, 1
	s_delay_alu instid0(VALU_DEP_2) | instskip(NEXT) | instid1(VALU_DEP_2)
	v_add3_u32 v64, v81, v64, 0x7fff
	v_add3_u32 v65, v80, v65, 0x7fff
	s_delay_alu instid0(VALU_DEP_2) | instskip(NEXT) | instid1(VALU_DEP_2)
	v_lshrrev_b32_e32 v64, 16, v64
	v_lshrrev_b32_e32 v65, 16, v65
	s_wait_alu depctr_va_vcc(0)
	s_delay_alu instid0(VALU_DEP_2) | instskip(SKIP_1) | instid1(VALU_DEP_2)
	v_cndmask_b32_e32 v64, 0x7fff, v64, vcc_lo
	s_wait_alu depctr_va_sdst(0)
	v_cndmask_b32_e64 v65, 0x7fff, v65, s0
	v_cmp_o_f32_e32 vcc_lo, v79, v79
	v_cmp_o_f32_e64 s0, v78, v78
	s_delay_alu instid0(VALU_DEP_3) | instskip(SKIP_2) | instid1(VALU_DEP_3)
	v_perm_b32 v65, v64, v65, 0x5040100
	v_bfe_u32 v64, v79, 16, 1
	s_wait_alu depctr_va_sdst(0)
	v_cndmask_b32_e64 v68, 0x7fff, v68, s0
	s_delay_alu instid0(VALU_DEP_2) | instskip(NEXT) | instid1(VALU_DEP_1)
	v_add3_u32 v64, v79, v64, 0x7fff
	v_lshrrev_b32_e32 v64, 16, v64
	s_wait_alu depctr_va_vcc(0)
	s_delay_alu instid0(VALU_DEP_1) | instskip(NEXT) | instid1(VALU_DEP_1)
	v_cndmask_b32_e32 v64, 0x7fff, v64, vcc_lo
	v_perm_b32 v64, v64, v68, 0x5040100
	.loc	1 45 20                         ; attention_fwd.py:45:20
	ds_load_u16 v70, v130 offset:13312
	ds_load_u16 v71, v130 offset:13824
	ds_load_u16 v75, v130 offset:13856
	ds_load_u16 v74, v130 offset:13344
	ds_load_u16 v80, v130 offset:13376
	ds_load_u16 v81, v130 offset:13888
	ds_load_u16 v85, v130 offset:13920
	ds_load_u16 v84, v130 offset:13408
	ds_load_u16 v88, v130 offset:13440
	ds_load_u16 v89, v130 offset:13952
	ds_load_u16 v93, v130 offset:13984
	ds_load_u16 v92, v130 offset:13472
	ds_load_u16 v135, v130 offset:13504
	ds_load_u16 v136, v130 offset:14016
	ds_load_u16 v140, v130 offset:14048
	ds_load_u16 v139, v130 offset:13536
	ds_load_u16 v69, v130 offset:12800
	ds_load_u16 v73, v130 offset:12832
	ds_load_u16 v79, v130 offset:12864
	ds_load_u16 v83, v130 offset:12896
	ds_load_u16 v87, v130 offset:12928
	ds_load_u16 v91, v130 offset:12960
	ds_load_u16 v134, v130 offset:12992
	ds_load_u16 v138, v130 offset:13024
	ds_load_u16 v68, v130 offset:12288
	ds_load_u16 v72, v130 offset:12320
	ds_load_u16 v78, v130 offset:12352
	ds_load_u16 v82, v130 offset:12384
	ds_load_u16 v86, v130 offset:12416
	ds_load_u16 v90, v130 offset:12448
	ds_load_u16 v133, v130 offset:12480
	ds_load_u16 v137, v130 offset:12512
	s_wait_dscnt 0x1e
	ds_load_u16_d16_hi v71, v130 offset:14080
	s_wait_dscnt 0x1e
	ds_load_u16_d16_hi v75, v130 offset:14112
	;; [unrolled: 2-line block ×8, first 2 shown]
	ds_load_u16_d16_hi v70, v130 offset:13568
	ds_load_u16_d16_hi v74, v130 offset:13600
	;; [unrolled: 1-line block ×7, first 2 shown]
	s_wait_dscnt 0x1f
	ds_load_u16_d16_hi v139, v130 offset:13792
	s_wait_dscnt 0x1f
	ds_load_u16_d16_hi v69, v130 offset:13056
	;; [unrolled: 2-line block ×17, first 2 shown]
	.loc	1 46 37                         ; attention_fwd.py:46:37
	s_wait_dscnt 0x7
	v_wmma_f32_16x16x16_bf16 v[0:7], v[68:71], v[64:67], v[0:7]
	s_wait_dscnt 0x6
	v_wmma_f32_16x16x16_bf16 v[8:15], v[72:75], v[64:67], v[8:15]
	;; [unrolled: 2-line block ×8, first 2 shown]
.Ltmp105:
	.loc	2 263 15                        ; standard.py:263:15 @[ standard.py:293:36 @[ attention_fwd.py:42:38 ] ]
	v_add_f32_e32 v64, v76, v77
	s_delay_alu instid0(VALU_DEP_1) | instskip(NEXT) | instid1(VALU_DEP_1)
.Ltmp106:
	.loc	1 42 28                         ; attention_fwd.py:42:28
	v_fmac_f32_e32 v64, v131, v132
	v_mov_b32_e32 v131, v64
.LBB0_393:
	.loc	1 17 46                         ; attention_fwd.py:17:46
	s_lshr_b32 s0, s44, 1
	.loc	1 17 33 is_stmt 0               ; attention_fwd.py:17:33
	s_wait_alu depctr_sa_sdst(0)
	v_or3_b32 v64, v129, s0, s35
	.loc	1 50 23 is_stmt 1               ; attention_fwd.py:50:23
	s_mov_b32 s0, exec_lo
	s_delay_alu instid0(VALU_DEP_1)
	.loc	1 21 47                         ; attention_fwd.py:21:47
	v_cmpx_gt_i32_e64 s34, v64
	s_cbranch_execz .LBB0_395
; %bb.394:                              ; %.critedge
	.loc	1 49 39                         ; attention_fwd.py:49:39
	v_mul_lo_u32 v64, s4, v64
	.loc	1 48 16                         ; attention_fwd.py:48:16
	v_div_scale_f32 v66, null, v131, v131, v63
	v_div_scale_f32 v69, null, v131, v131, v62
	.loc	1 20 54                         ; attention_fwd.py:20:54
	v_or_b32_e32 v78, 0x42, v128
	s_delay_alu instid0(VALU_DEP_3)
	.loc	1 48 16                         ; attention_fwd.py:48:16
	v_rcp_f32_e32 v67, v66
	.loc	1 20 54                         ; attention_fwd.py:20:54
	v_or_b32_e32 v80, 0x43, v128
	.loc	1 49 21                         ; attention_fwd.py:49:21
	v_ashrrev_i32_e32 v65, 31, v64
	.loc	1 48 16                         ; attention_fwd.py:48:16
	v_rcp_f32_e32 v71, v69
	.loc	1 20 54                         ; attention_fwd.py:20:54
	v_or_b32_e32 v82, 0x44, v128
	v_or_b32_e32 v86, 0x47, v128
	v_or_b32_e32 v88, 0x50, v128
	.loc	1 49 21                         ; attention_fwd.py:49:21
	v_lshlrev_b64_e32 v[64:65], 1, v[64:65]
	.loc	1 20 54                         ; attention_fwd.py:20:54
	v_or_b32_e32 v95, 0x55, v128
	v_or_b32_e32 v155, 0x76, v128
	.loc	1 48 16                         ; attention_fwd.py:48:16
	v_fma_f32 v68, -v66, v67, 1.0
	.loc	1 20 54                         ; attention_fwd.py:20:54
	v_or_b32_e32 v157, 0x77, v128
	v_or_b32_e32 v153, 0x75, v128
	.loc	1 49 21                         ; attention_fwd.py:49:21
	v_add_co_u32 v64, vcc_lo, s36, v64
	s_wait_alu depctr_va_vcc(0)
	v_add_co_ci_u32_e64 v65, null, s37, v65, vcc_lo
	.loc	1 48 16                         ; attention_fwd.py:48:16
	v_fmac_f32_e32 v67, v68, v67
	v_div_scale_f32 v68, vcc_lo, v63, v131, v63
	v_fma_f32 v73, -v69, v71, 1.0
	.loc	1 20 54                         ; attention_fwd.py:20:54
	v_or_b32_e32 v152, 0x74, v128
	v_or_b32_e32 v149, 0x73, v128
	s_delay_alu instid0(VALU_DEP_4)
	.loc	1 48 16                         ; attention_fwd.py:48:16
	v_mul_f32_e32 v70, v68, v67
	.loc	1 20 54                         ; attention_fwd.py:20:54
	v_or_b32_e32 v148, 0x72, v128
	v_or_b32_e32 v147, 0x71, v128
	v_or_b32_e32 v145, 0x70, v128
	v_or_b32_e32 v142, 0x67, v128
	.loc	1 48 16                         ; attention_fwd.py:48:16
	v_fma_f32 v72, -v66, v70, v68
	.loc	1 20 54                         ; attention_fwd.py:20:54
	v_or_b32_e32 v141, 0x66, v128
	v_or_b32_e32 v140, 0x65, v128
	;; [unrolled: 1-line block ×4, first 2 shown]
	.loc	1 48 16                         ; attention_fwd.py:48:16
	v_fmac_f32_e32 v70, v72, v67
	v_div_scale_f32 v72, null, v131, v131, v61
	.loc	1 20 54                         ; attention_fwd.py:20:54
	v_or_b32_e32 v136, 0x62, v128
	v_or_b32_e32 v135, 0x61, v128
	s_delay_alu instid0(VALU_DEP_4) | instskip(NEXT) | instid1(VALU_DEP_4)
	.loc	1 48 16                         ; attention_fwd.py:48:16
	v_fma_f32 v66, -v66, v70, v68
	v_rcp_f32_e32 v68, v72
	.loc	1 20 54                         ; attention_fwd.py:20:54
	v_or_b32_e32 v132, 0x60, v128
	v_or_b32_e32 v129, 0x57, v128
	;; [unrolled: 1-line block ×3, first 2 shown]
	.loc	1 48 16                         ; attention_fwd.py:48:16
	s_wait_alu depctr_va_vcc(0)
	v_div_fmas_f32 v66, v66, v67, v70
	.loc	1 20 54                         ; attention_fwd.py:20:54
	v_or_b32_e32 v94, 0x54, v128
	v_or_b32_e32 v93, 0x53, v128
	;; [unrolled: 1-line block ×4, first 2 shown]
	.loc	1 48 16                         ; attention_fwd.py:48:16
	v_div_fixup_f32 v63, v66, v131, v63
	v_div_scale_f32 v66, null, v131, v131, v60
	v_fma_f32 v70, -v72, v68, 1.0
	.loc	1 20 54                         ; attention_fwd.py:20:54
	v_or_b32_e32 v85, 0x46, v128
	s_delay_alu instid0(VALU_DEP_4) | instskip(NEXT) | instid1(VALU_DEP_4)
	.loc	1 50 30                         ; attention_fwd.py:50:30
	v_bfe_u32 v79, v63, 16, 1
	.loc	1 48 16                         ; attention_fwd.py:48:16
	v_rcp_f32_e32 v77, v66
	.loc	1 20 54                         ; attention_fwd.py:20:54
	v_or_b32_e32 v84, 0x45, v128
	.loc	1 48 16                         ; attention_fwd.py:48:16
	v_fmac_f32_e32 v68, v70, v68
	v_div_scale_f32 v70, s1, v61, v131, v61
	v_fmac_f32_e32 v71, v73, v71
	v_div_scale_f32 v73, s0, v62, v131, v62
	s_wait_alu depctr_sa_sdst(0)
	s_mov_b32 vcc_lo, s0
	.loc	1 50 30                         ; attention_fwd.py:50:30
	v_add3_u32 v79, v63, v79, 0x7fff
	s_delay_alu instid0(TRANS32_DEP_1)
	.loc	1 48 16                         ; attention_fwd.py:48:16
	v_fma_f32 v81, -v66, v77, 1.0
	.loc	1 20 54                         ; attention_fwd.py:20:54
	v_or_b32_e32 v76, 0x41, v128
	v_or_b32_e32 v75, 64, v128
	.loc	1 49 69                         ; attention_fwd.py:49:69
	v_mul_lo_u32 v124, s5, v124
	.loc	1 50 30                         ; attention_fwd.py:50:30
	v_lshrrev_b32_e32 v79, 16, v79
	.loc	1 48 16                         ; attention_fwd.py:48:16
	v_fmac_f32_e32 v77, v81, v77
	v_mul_f32_e32 v67, v73, v71
	.loc	1 49 69                         ; attention_fwd.py:49:69
	v_mul_lo_u32 v75, s5, v75
	v_mul_lo_u32 v123, s5, v123
	v_mul_lo_u32 v122, s5, v122
	v_mul_lo_u32 v121, s5, v121
	.loc	1 48 16                         ; attention_fwd.py:48:16
	v_fma_f32 v74, -v69, v67, v73
	.loc	1 49 69                         ; attention_fwd.py:49:69
	v_mul_lo_u32 v120, s5, v120
	v_mul_lo_u32 v119, s5, v119
	v_mul_lo_u32 v118, s5, v118
	v_mul_lo_u32 v117, s5, v117
	.loc	1 48 16                         ; attention_fwd.py:48:16
	v_fmac_f32_e32 v67, v74, v71
	v_mul_f32_e32 v74, v70, v68
	.loc	1 49 69                         ; attention_fwd.py:49:69
	v_mul_lo_u32 v116, s5, v116
	v_mul_lo_u32 v115, s5, v115
	;; [unrolled: 1-line block ×3, first 2 shown]
	.loc	1 48 16                         ; attention_fwd.py:48:16
	v_fma_f32 v69, -v69, v67, v73
	v_fma_f32 v73, -v72, v74, v70
	.loc	1 49 69                         ; attention_fwd.py:49:69
	v_mul_lo_u32 v113, s5, v113
	v_mul_lo_u32 v112, s5, v112
	;; [unrolled: 1-line block ×4, first 2 shown]
	.loc	1 48 16                         ; attention_fwd.py:48:16
	v_fmac_f32_e32 v74, v73, v68
	s_wait_alu depctr_sa_sdst(0)
	v_div_fmas_f32 v67, v69, v71, v67
	v_div_scale_f32 v69, null, v131, v131, v59
	v_div_scale_f32 v71, s0, v60, v131, v60
	v_fma_f32 v70, -v72, v74, v70
	s_delay_alu instid0(VALU_DEP_3)
	v_rcp_f32_e32 v73, v69
	v_div_fixup_f32 v67, v67, v131, v62
	s_mov_b32 vcc_lo, s1
	v_mul_f32_e32 v72, v71, v77
	s_wait_alu depctr_sa_sdst(0)
	v_div_fmas_f32 v68, v70, v68, v74
	.loc	1 50 30                         ; attention_fwd.py:50:30
	v_cmp_o_f32_e32 vcc_lo, v63, v63
	v_bfe_u32 v63, v67, 16, 1
	.loc	1 49 69                         ; attention_fwd.py:49:69
	v_mul_lo_u32 v109, s5, v109
	.loc	1 48 16                         ; attention_fwd.py:48:16
	v_fma_f32 v70, -v66, v72, v71
	v_div_fixup_f32 v61, v68, v131, v61
	v_fma_f32 v74, -v69, v73, 1.0
	.loc	1 50 30                         ; attention_fwd.py:50:30
	v_add3_u32 v63, v67, v63, 0x7fff
	.loc	1 48 16                         ; attention_fwd.py:48:16
	v_div_scale_f32 v68, s1, v59, v131, v59
	.loc	1 49 69                         ; attention_fwd.py:49:69
	v_mul_lo_u32 v108, s5, v108
	s_delay_alu instid0(VALU_DEP_4) | instskip(NEXT) | instid1(VALU_DEP_4)
	.loc	1 48 16                         ; attention_fwd.py:48:16
	v_fmac_f32_e32 v73, v74, v73
	.loc	1 50 30                         ; attention_fwd.py:50:30
	v_lshrrev_b32_e32 v63, 16, v63
	.loc	1 48 16                         ; attention_fwd.py:48:16
	v_fmac_f32_e32 v72, v70, v77
	.loc	1 50 30                         ; attention_fwd.py:50:30
	s_wait_alu depctr_va_vcc(0)
	v_cndmask_b32_e32 v62, 0x7fff, v79, vcc_lo
	.loc	1 48 16                         ; attention_fwd.py:48:16
	v_div_scale_f32 v70, null, v131, v131, v58
	s_mov_b32 vcc_lo, s0
	v_fma_f32 v66, -v66, v72, v71
	v_mul_f32_e32 v71, v68, v73
	v_rcp_f32_e32 v79, v70
	.loc	1 50 30                         ; attention_fwd.py:50:30
	v_bfe_u32 v74, v61, 16, 1
	.loc	1 49 69                         ; attention_fwd.py:49:69
	v_mul_lo_u32 v107, s5, v107
	.loc	1 48 16                         ; attention_fwd.py:48:16
	s_wait_alu depctr_sa_sdst(0)
	v_div_fmas_f32 v66, v66, v77, v72
	v_fma_f32 v72, -v69, v71, v68
	v_div_scale_f32 v77, null, v131, v131, v57
	.loc	1 50 30                         ; attention_fwd.py:50:30
	v_cmp_o_f32_e32 vcc_lo, v67, v67
	s_delay_alu instid0(VALU_DEP_4) | instskip(NEXT) | instid1(VALU_DEP_4)
	.loc	1 48 16                         ; attention_fwd.py:48:16
	v_div_fixup_f32 v60, v66, v131, v60
	v_fmac_f32_e32 v71, v72, v73
	s_delay_alu instid0(VALU_DEP_4)
	v_rcp_f32_e32 v72, v77
	v_fma_f32 v66, -v70, v79, 1.0
	.loc	1 50 30                         ; attention_fwd.py:50:30
	s_wait_alu depctr_va_vcc(0)
	v_cndmask_b32_e32 v63, 0x7fff, v63, vcc_lo
	.loc	1 48 16                         ; attention_fwd.py:48:16
	s_mov_b32 vcc_lo, s1
	.loc	1 50 30                         ; attention_fwd.py:50:30
	v_add3_u32 v74, v61, v74, 0x7fff
	.loc	1 48 16                         ; attention_fwd.py:48:16
	v_div_scale_f32 v81, s1, v57, v131, v57
	v_fmac_f32_e32 v79, v66, v79
	.loc	1 49 69                         ; attention_fwd.py:49:69
	v_mul_lo_u32 v106, s5, v106
	s_delay_alu instid0(VALU_DEP_4)
	.loc	1 50 30                         ; attention_fwd.py:50:30
	v_lshrrev_b32_e32 v67, 16, v74
	.loc	1 48 16                         ; attention_fwd.py:48:16
	v_fma_f32 v66, -v77, v72, 1.0
	.loc	1 50 30                         ; attention_fwd.py:50:30
	v_bfe_u32 v74, v60, 16, 1
	.loc	1 49 69                         ; attention_fwd.py:49:69
	v_mul_lo_u32 v105, s5, v105
	v_mul_lo_u32 v104, s5, v104
	v_mul_lo_u32 v202, s5, v103
	.loc	1 48 16                         ; attention_fwd.py:48:16
	v_fmac_f32_e32 v72, v66, v72
	v_fma_f32 v68, -v69, v71, v68
	v_div_scale_f32 v69, s0, v58, v131, v58
	.loc	1 50 30                         ; attention_fwd.py:50:30
	v_add3_u32 v74, v60, v74, 0x7fff
	.loc	1 49 69                         ; attention_fwd.py:49:69
	v_mul_lo_u32 v102, s5, v102
	.loc	1 48 16                         ; attention_fwd.py:48:16
	s_wait_alu depctr_sa_sdst(0)
	v_div_fmas_f32 v68, v68, v73, v71
	v_div_scale_f32 v73, null, v131, v131, v56
	v_mul_f32_e32 v71, v69, v79
	.loc	1 50 30                         ; attention_fwd.py:50:30
	v_cmp_o_f32_e32 vcc_lo, v61, v61
	s_delay_alu instid0(VALU_DEP_4) | instskip(NEXT) | instid1(VALU_DEP_4)
	.loc	1 48 16                         ; attention_fwd.py:48:16
	v_div_fixup_f32 v59, v68, v131, v59
	v_rcp_f32_e32 v83, v73
	v_mul_f32_e32 v87, v81, v72
	v_fma_f32 v68, -v70, v71, v69
	.loc	1 50 30                         ; attention_fwd.py:50:30
	s_wait_alu depctr_va_vcc(0)
	v_cndmask_b32_e32 v66, 0x7fff, v67, vcc_lo
	v_lshrrev_b32_e32 v61, 16, v74
	v_cmp_o_f32_e32 vcc_lo, v60, v60
	v_bfe_u32 v74, v59, 16, 1
	.loc	1 48 16                         ; attention_fwd.py:48:16
	v_fmac_f32_e32 v71, v68, v79
	v_fma_f32 v68, -v77, v87, v81
	.loc	1 49 51                         ; attention_fwd.py:49:51
	v_ashrrev_i32_e32 v203, 31, v202
	.loc	1 48 16                         ; attention_fwd.py:48:16
	v_fma_f32 v89, -v73, v83, 1.0
	.loc	1 50 30                         ; attention_fwd.py:50:30
	v_add3_u32 v60, v59, v74, 0x7fff
	.loc	1 49 69                         ; attention_fwd.py:49:69
	v_mul_lo_u32 v208, s5, v98
	.loc	1 48 16                         ; attention_fwd.py:48:16
	v_fmac_f32_e32 v87, v68, v72
	.loc	1 49 69                         ; attention_fwd.py:49:69
	v_mul_lo_u32 v101, s5, v101
	.loc	1 48 16                         ; attention_fwd.py:48:16
	v_fmac_f32_e32 v83, v89, v83
	.loc	1 50 30                         ; attention_fwd.py:50:30
	s_wait_alu depctr_va_vcc(0)
	v_cndmask_b32_e32 v67, 0x7fff, v61, vcc_lo
	.loc	1 48 16                         ; attention_fwd.py:48:16
	v_fma_f32 v61, -v70, v71, v69
	v_div_scale_f32 v70, null, v131, v131, v55
	s_mov_b32 vcc_lo, s0
	v_div_scale_f32 v69, s2, v56, v131, v56
	s_wait_alu depctr_sa_sdst(0)
	v_div_fmas_f32 v61, v61, v79, v71
	v_fma_f32 v68, -v77, v87, v81
	v_rcp_f32_e32 v71, v70
	s_mov_b32 vcc_lo, s1
	.loc	1 50 30                         ; attention_fwd.py:50:30
	v_lshrrev_b32_e32 v60, 16, v60
	.loc	1 48 16                         ; attention_fwd.py:48:16
	v_mul_f32_e32 v74, v69, v83
	v_div_fixup_f32 v58, v61, v131, v58
	s_wait_alu depctr_sa_sdst(0)
	v_div_fmas_f32 v61, v68, v72, v87
	.loc	1 50 30                         ; attention_fwd.py:50:30
	v_cmp_o_f32_e32 vcc_lo, v59, v59
	.loc	1 48 16                         ; attention_fwd.py:48:16
	v_div_scale_f32 v81, null, v131, v131, v53
	v_fma_f32 v72, -v73, v74, v69
	s_delay_alu instid0(VALU_DEP_4)
	v_div_fixup_f32 v57, v61, v131, v57
	.loc	1 50 30                         ; attention_fwd.py:50:30
	s_wait_alu depctr_va_vcc(0)
	v_cndmask_b32_e32 v68, 0x7fff, v60, vcc_lo
	.loc	1 48 16                         ; attention_fwd.py:48:16
	v_fma_f32 v60, -v70, v71, 1.0
	v_div_scale_f32 v61, null, v131, v131, v54
	v_fmac_f32_e32 v74, v72, v83
	.loc	1 50 30                         ; attention_fwd.py:50:30
	v_bfe_u32 v59, v58, 16, 1
	s_delay_alu instid0(VALU_DEP_4) | instskip(SKIP_4) | instid1(VALU_DEP_2)
	.loc	1 48 16                         ; attention_fwd.py:48:16
	v_fmac_f32_e32 v71, v60, v71
	v_div_scale_f32 v60, s0, v55, v131, v55
	v_rcp_f32_e32 v72, v61
	v_fma_f32 v69, -v73, v74, v69
	s_mov_b32 vcc_lo, s2
	v_mul_f32_e32 v77, v60, v71
	.loc	1 50 30                         ; attention_fwd.py:50:30
	v_add3_u32 v59, v58, v59, 0x7fff
	v_bfe_u32 v73, v57, 16, 1
	.loc	1 48 16                         ; attention_fwd.py:48:16
	s_wait_alu depctr_sa_sdst(0)
	v_div_fmas_f32 v69, v69, v83, v74
	.loc	1 50 30                         ; attention_fwd.py:50:30
	v_cmp_o_f32_e32 vcc_lo, v58, v58
	.loc	1 48 16                         ; attention_fwd.py:48:16
	v_fma_f32 v74, -v70, v77, v60
	.loc	1 50 30                         ; attention_fwd.py:50:30
	v_lshrrev_b32_e32 v59, 16, v59
	.loc	1 48 16                         ; attention_fwd.py:48:16
	v_fma_f32 v79, -v61, v72, 1.0
	v_div_fixup_f32 v56, v69, v131, v56
	.loc	1 50 30                         ; attention_fwd.py:50:30
	v_add3_u32 v73, v57, v73, 0x7fff
	.loc	1 48 16                         ; attention_fwd.py:48:16
	v_fmac_f32_e32 v77, v74, v71
	v_div_scale_f32 v74, s1, v54, v131, v54
	v_fmac_f32_e32 v72, v79, v72
	v_rcp_f32_e32 v79, v81
	.loc	1 50 30                         ; attention_fwd.py:50:30
	s_wait_alu depctr_va_vcc(0)
	v_cndmask_b32_e32 v69, 0x7fff, v59, vcc_lo
	.loc	1 48 16                         ; attention_fwd.py:48:16
	v_fma_f32 v59, -v70, v77, v60
	s_mov_b32 vcc_lo, s0
	v_mul_f32_e32 v60, v74, v72
	.loc	1 50 30                         ; attention_fwd.py:50:30
	v_lshrrev_b32_e32 v58, 16, v73
	v_bfe_u32 v73, v56, 16, 1
	.loc	1 48 16                         ; attention_fwd.py:48:16
	s_wait_alu depctr_sa_sdst(0)
	v_div_fmas_f32 v59, v59, v71, v77
	.loc	1 50 30                         ; attention_fwd.py:50:30
	v_cmp_o_f32_e32 vcc_lo, v57, v57
	.loc	1 48 16                         ; attention_fwd.py:48:16
	v_fma_f32 v71, -v61, v60, v74
	v_fma_f32 v77, -v81, v79, 1.0
	.loc	1 50 30                         ; attention_fwd.py:50:30
	v_add3_u32 v57, v56, v73, 0x7fff
	.loc	1 48 16                         ; attention_fwd.py:48:16
	v_div_fixup_f32 v55, v59, v131, v55
	v_div_scale_f32 v59, null, v131, v131, v52
	s_delay_alu instid0(VALU_DEP_4) | instskip(SKIP_2) | instid1(VALU_DEP_3)
	v_dual_fmac_f32 v60, v71, v72 :: v_dual_fmac_f32 v79, v77, v79
	.loc	1 50 30                         ; attention_fwd.py:50:30
	s_wait_alu depctr_va_vcc(0)
	v_cndmask_b32_e32 v70, 0x7fff, v58, vcc_lo
	.loc	1 48 16                         ; attention_fwd.py:48:16
	v_rcp_f32_e32 v77, v59
	s_mov_b32 vcc_lo, s1
	v_fma_f32 v61, -v61, v60, v74
	v_div_scale_f32 v58, s0, v53, v131, v53
	.loc	1 50 30                         ; attention_fwd.py:50:30
	v_lshrrev_b32_e32 v57, 16, v57
	v_bfe_u32 v73, v55, 16, 1
	.loc	1 48 16                         ; attention_fwd.py:48:16
	s_wait_alu depctr_sa_sdst(0)
	v_div_fmas_f32 v60, v61, v72, v60
	.loc	1 50 30                         ; attention_fwd.py:50:30
	v_cmp_o_f32_e32 vcc_lo, v56, v56
	.loc	1 49 69                         ; attention_fwd.py:49:69
	v_mul_lo_u32 v100, s5, v100
	v_mul_lo_u32 v99, s5, v99
	.loc	1 50 30                         ; attention_fwd.py:50:30
	v_add3_u32 v56, v55, v73, 0x7fff
	.loc	1 48 16                         ; attention_fwd.py:48:16
	v_div_fixup_f32 v54, v60, v131, v54
	.loc	1 50 30                         ; attention_fwd.py:50:30
	s_wait_alu depctr_va_vcc(0)
	v_cndmask_b32_e32 v71, 0x7fff, v57, vcc_lo
	.loc	1 48 16                         ; attention_fwd.py:48:16
	v_fma_f32 v57, -v59, v77, 1.0
	v_mul_f32_e32 v74, v58, v79
	v_div_scale_f32 v60, null, v131, v131, v51
	s_mov_b32 vcc_lo, s0
	v_fmac_f32_e32 v77, v57, v77
	v_fma_f32 v61, -v81, v74, v58
	v_rcp_f32_e32 v57, v60
	.loc	1 50 30                         ; attention_fwd.py:50:30
	v_lshrrev_b32_e32 v56, 16, v56
	.loc	1 49 69                         ; attention_fwd.py:49:69
	v_mul_lo_u32 v97, s5, v97
	.loc	1 49 51 is_stmt 0               ; attention_fwd.py:49:51
	v_ashrrev_i32_e32 v209, 31, v208
	.loc	1 48 16 is_stmt 1               ; attention_fwd.py:48:16
	v_fmac_f32_e32 v74, v61, v79
	.loc	1 50 30                         ; attention_fwd.py:50:30
	v_bfe_u32 v61, v54, 16, 1
	.loc	1 49 69                         ; attention_fwd.py:49:69
	v_mul_lo_u32 v128, s5, v128
	s_delay_alu instid0(VALU_DEP_3) | instskip(SKIP_2) | instid1(VALU_DEP_2)
	.loc	1 48 16                         ; attention_fwd.py:48:16
	v_fma_f32 v58, -v81, v74, v58
	v_div_scale_f32 v81, s1, v52, v131, v52
	s_wait_alu depctr_sa_sdst(0)
	v_div_fmas_f32 v58, v58, v79, v74
	.loc	1 50 30                         ; attention_fwd.py:50:30
	v_cmp_o_f32_e32 vcc_lo, v55, v55
	v_add3_u32 v55, v54, v61, 0x7fff
	.loc	1 48 16                         ; attention_fwd.py:48:16
	v_fma_f32 v61, -v60, v57, 1.0
	s_delay_alu instid0(VALU_DEP_4)
	v_div_fixup_f32 v53, v58, v131, v53
	.loc	1 50 30                         ; attention_fwd.py:50:30
	s_wait_alu depctr_va_vcc(0)
	v_cndmask_b32_e32 v72, 0x7fff, v56, vcc_lo
	.loc	1 48 16                         ; attention_fwd.py:48:16
	v_mul_f32_e32 v56, v81, v77
	v_div_scale_f32 v58, null, v131, v131, v50
	v_fmac_f32_e32 v57, v61, v57
	v_div_scale_f32 v61, s0, v51, v131, v51
	s_delay_alu instid0(VALU_DEP_4) | instskip(NEXT) | instid1(VALU_DEP_4)
	v_fma_f32 v73, -v59, v56, v81
	v_rcp_f32_e32 v79, v58
	.loc	1 50 30                         ; attention_fwd.py:50:30
	v_lshrrev_b32_e32 v55, 16, v55
	s_delay_alu instid0(VALU_DEP_3)
	.loc	1 48 16                         ; attention_fwd.py:48:16
	v_mul_f32_e32 v83, v61, v57
	.loc	1 50 30                         ; attention_fwd.py:50:30
	v_cmp_o_f32_e32 vcc_lo, v54, v54
	.loc	1 48 16                         ; attention_fwd.py:48:16
	v_fmac_f32_e32 v56, v73, v77
	.loc	1 50 30                         ; attention_fwd.py:50:30
	v_bfe_u32 v74, v53, 16, 1
	s_wait_alu depctr_va_vcc(0)
	v_cndmask_b32_e32 v73, 0x7fff, v55, vcc_lo
	s_delay_alu instid0(VALU_DEP_3)
	.loc	1 48 16                         ; attention_fwd.py:48:16
	v_fma_f32 v55, -v59, v56, v81
	v_fma_f32 v59, -v60, v83, v61
	s_mov_b32 vcc_lo, s1
	.loc	1 50 30                         ; attention_fwd.py:50:30
	v_add3_u32 v54, v53, v74, 0x7fff
	.loc	1 48 16                         ; attention_fwd.py:48:16
	v_fma_f32 v74, -v58, v79, 1.0
	s_wait_alu depctr_sa_sdst(0)
	v_div_fmas_f32 v55, v55, v77, v56
	v_fmac_f32_e32 v83, v59, v57
	v_div_scale_f32 v56, null, v131, v131, v49
	v_fmac_f32_e32 v79, v74, v79
	v_div_scale_f32 v59, s1, v50, v131, v50
	v_div_fixup_f32 v52, v55, v131, v52
	s_delay_alu instid0(VALU_DEP_4)
	v_rcp_f32_e32 v55, v56
	v_fma_f32 v60, -v60, v83, v61
	s_mov_b32 vcc_lo, s0
	v_mul_f32_e32 v61, v59, v79
	v_div_scale_f32 v81, null, v131, v131, v48
	s_wait_alu depctr_sa_sdst(0)
	v_div_fmas_f32 v57, v60, v57, v83
	.loc	1 50 30                         ; attention_fwd.py:50:30
	v_bfe_u32 v74, v52, 16, 1
	.loc	1 48 16                         ; attention_fwd.py:48:16
	v_fma_f32 v60, -v58, v61, v59
	.loc	1 50 30                         ; attention_fwd.py:50:30
	v_lshrrev_b32_e32 v54, 16, v54
	.loc	1 48 16                         ; attention_fwd.py:48:16
	v_fma_f32 v77, -v56, v55, 1.0
	v_div_fixup_f32 v51, v57, v131, v51
	v_rcp_f32_e32 v57, v81
	.loc	1 50 30                         ; attention_fwd.py:50:30
	v_add3_u32 v83, v52, v74, 0x7fff
	.loc	1 48 16                         ; attention_fwd.py:48:16
	v_fmac_f32_e32 v61, v60, v79
	v_fmac_f32_e32 v55, v77, v55
	v_div_scale_f32 v60, s0, v49, v131, v49
	.loc	1 50 30                         ; attention_fwd.py:50:30
	v_cmp_o_f32_e32 vcc_lo, v53, v53
	v_lshrrev_b32_e32 v53, 16, v83
	.loc	1 48 16                         ; attention_fwd.py:48:16
	v_fma_f32 v58, -v58, v61, v59
	s_delay_alu instid0(VALU_DEP_4) | instskip(NEXT) | instid1(TRANS32_DEP_1)
	v_mul_f32_e32 v59, v60, v55
	v_fma_f32 v77, -v81, v57, 1.0
	v_div_scale_f32 v83, null, v131, v131, v47
	.loc	1 50 30                         ; attention_fwd.py:50:30
	s_wait_alu depctr_va_vcc(0)
	v_cndmask_b32_e32 v74, 0x7fff, v54, vcc_lo
	.loc	1 48 16                         ; attention_fwd.py:48:16
	s_mov_b32 vcc_lo, s1
	.loc	1 50 30                         ; attention_fwd.py:50:30
	v_bfe_u32 v54, v51, 16, 1
	.loc	1 48 16                         ; attention_fwd.py:48:16
	s_wait_alu depctr_sa_sdst(0)
	v_div_fmas_f32 v58, v58, v79, v61
	v_fma_f32 v61, -v56, v59, v60
	v_fmac_f32_e32 v57, v77, v57
	v_div_scale_f32 v79, s1, v48, v131, v48
	v_rcp_f32_e32 v87, v83
	.loc	1 50 30                         ; attention_fwd.py:50:30
	v_add3_u32 v54, v51, v54, 0x7fff
	.loc	1 48 16                         ; attention_fwd.py:48:16
	v_div_fixup_f32 v50, v58, v131, v50
	s_delay_alu instid0(VALU_DEP_3) | instskip(SKIP_1) | instid1(VALU_DEP_4)
	v_dual_fmac_f32 v59, v61, v55 :: v_dual_mul_f32 v58, v79, v57
	.loc	1 50 30                         ; attention_fwd.py:50:30
	v_cmp_o_f32_e32 vcc_lo, v52, v52
	v_lshrrev_b32_e32 v52, 16, v54
	s_delay_alu instid0(VALU_DEP_3) | instskip(NEXT) | instid1(VALU_DEP_4)
	.loc	1 48 16                         ; attention_fwd.py:48:16
	v_fma_f32 v54, -v56, v59, v60
	v_fma_f32 v56, -v81, v58, v79
	s_delay_alu instid0(TRANS32_DEP_1)
	v_fma_f32 v60, -v83, v87, 1.0
	.loc	1 50 30                         ; attention_fwd.py:50:30
	s_wait_alu depctr_va_vcc(0)
	v_cndmask_b32_e32 v77, 0x7fff, v53, vcc_lo
	.loc	1 48 16                         ; attention_fwd.py:48:16
	s_mov_b32 vcc_lo, s0
	.loc	1 50 30                         ; attention_fwd.py:50:30
	v_bfe_u32 v53, v50, 16, 1
	.loc	1 48 16                         ; attention_fwd.py:48:16
	s_wait_alu depctr_sa_sdst(0)
	v_div_fmas_f32 v54, v54, v55, v59
	v_fmac_f32_e32 v58, v56, v57
	v_fmac_f32_e32 v87, v60, v87
	v_div_scale_f32 v55, s0, v47, v131, v47
	v_div_scale_f32 v56, null, v131, v131, v46
	v_div_fixup_f32 v49, v54, v131, v49
	v_fma_f32 v54, -v81, v58, v79
	s_delay_alu instid0(VALU_DEP_4) | instskip(NEXT) | instid1(VALU_DEP_4)
	v_mul_f32_e32 v59, v55, v87
	v_rcp_f32_e32 v60, v56
	s_mov_b32 vcc_lo, s1
	.loc	1 50 30                         ; attention_fwd.py:50:30
	v_add3_u32 v53, v50, v53, 0x7fff
	.loc	1 48 16                         ; attention_fwd.py:48:16
	s_wait_alu depctr_sa_sdst(0)
	v_div_fmas_f32 v54, v54, v57, v58
	v_fma_f32 v58, -v83, v59, v55
	.loc	1 50 30                         ; attention_fwd.py:50:30
	v_bfe_u32 v57, v49, 16, 1
	v_cmp_o_f32_e32 vcc_lo, v51, v51
	v_lshrrev_b32_e32 v51, 16, v53
	.loc	1 48 16                         ; attention_fwd.py:48:16
	v_div_fixup_f32 v48, v54, v131, v48
	v_fmac_f32_e32 v59, v58, v87
	v_fma_f32 v53, -v56, v60, 1.0
	.loc	1 50 30                         ; attention_fwd.py:50:30
	s_wait_alu depctr_va_vcc(0)
	v_cndmask_b32_e32 v79, 0x7fff, v52, vcc_lo
	v_add3_u32 v52, v49, v57, 0x7fff
	.loc	1 48 16                         ; attention_fwd.py:48:16
	v_div_scale_f32 v57, null, v131, v131, v45
	v_fma_f32 v55, -v83, v59, v55
	v_fmac_f32_e32 v60, v53, v60
	v_div_scale_f32 v53, s1, v46, v131, v46
	s_mov_b32 vcc_lo, s0
	v_rcp_f32_e32 v58, v57
	s_wait_alu depctr_sa_sdst(0)
	v_div_fmas_f32 v55, v55, v87, v59
	v_mul_f32_e32 v59, v53, v60
	.loc	1 50 30                         ; attention_fwd.py:50:30
	v_bfe_u32 v54, v48, 16, 1
	v_cmp_o_f32_e32 vcc_lo, v50, v50
	v_lshrrev_b32_e32 v50, 16, v52
	.loc	1 48 16                         ; attention_fwd.py:48:16
	v_div_fixup_f32 v47, v55, v131, v47
	v_fma_f32 v52, -v56, v59, v53
	.loc	1 50 30                         ; attention_fwd.py:50:30
	s_wait_alu depctr_va_vcc(0)
	v_cndmask_b32_e32 v81, 0x7fff, v51, vcc_lo
	v_add3_u32 v51, v48, v54, 0x7fff
	.loc	1 48 16                         ; attention_fwd.py:48:16
	v_fma_f32 v54, -v57, v58, 1.0
	v_fmac_f32_e32 v59, v52, v60
	.loc	1 50 30                         ; attention_fwd.py:50:30
	v_cmp_o_f32_e32 vcc_lo, v49, v49
	s_delay_alu instid0(VALU_DEP_4) | instskip(NEXT) | instid1(VALU_DEP_4)
	v_lshrrev_b32_e32 v49, 16, v51
	.loc	1 48 16                         ; attention_fwd.py:48:16
	v_fmac_f32_e32 v58, v54, v58
	v_div_scale_f32 v51, s0, v45, v131, v45
	v_fma_f32 v52, -v56, v59, v53
	v_div_scale_f32 v53, null, v131, v131, v44
	.loc	1 50 30                         ; attention_fwd.py:50:30
	s_wait_alu depctr_va_vcc(0)
	v_cndmask_b32_e32 v83, 0x7fff, v50, vcc_lo
	.loc	1 48 16                         ; attention_fwd.py:48:16
	s_mov_b32 vcc_lo, s1
	.loc	1 50 30                         ; attention_fwd.py:50:30
	v_bfe_u32 v50, v47, 16, 1
	.loc	1 48 16                         ; attention_fwd.py:48:16
	v_mul_f32_e32 v54, v51, v58
	s_wait_alu depctr_sa_sdst(0)
	v_div_fmas_f32 v52, v52, v60, v59
	v_rcp_f32_e32 v55, v53
	v_div_scale_f32 v59, null, v131, v131, v43
	.loc	1 50 30                         ; attention_fwd.py:50:30
	v_cmp_o_f32_e32 vcc_lo, v48, v48
	v_add3_u32 v50, v47, v50, 0x7fff
	.loc	1 48 16                         ; attention_fwd.py:48:16
	v_fma_f32 v56, -v57, v54, v51
	v_div_fixup_f32 v46, v52, v131, v46
	.loc	1 49 69                         ; attention_fwd.py:49:69
	v_mul_lo_u32 v60, s5, v78
	.loc	1 50 30                         ; attention_fwd.py:50:30
	s_wait_alu depctr_va_vcc(0)
	v_cndmask_b32_e32 v87, 0x7fff, v49, vcc_lo
	.loc	1 48 16                         ; attention_fwd.py:48:16
	v_rcp_f32_e32 v49, v59
	.loc	1 50 30                         ; attention_fwd.py:50:30
	v_lshrrev_b32_e32 v48, 16, v50
	.loc	1 48 16                         ; attention_fwd.py:48:16
	v_fmac_f32_e32 v54, v56, v58
	v_fma_f32 v50, -v53, v55, 1.0
	.loc	1 50 30                         ; attention_fwd.py:50:30
	v_cmp_o_f32_e32 vcc_lo, v47, v47
	v_bfe_u32 v47, v46, 16, 1
	.loc	1 48 16                         ; attention_fwd.py:48:16
	v_div_scale_f32 v78, null, v131, v131, v0
	s_delay_alu instid0(VALU_DEP_4)
	v_fmac_f32_e32 v55, v50, v55
	.loc	1 50 30                         ; attention_fwd.py:50:30
	s_wait_alu depctr_va_vcc(0)
	v_cndmask_b32_e32 v89, 0x7fff, v48, vcc_lo
	.loc	1 48 16                         ; attention_fwd.py:48:16
	v_fma_f32 v48, -v57, v54, v51
	v_div_scale_f32 v50, s1, v44, v131, v44
	v_fma_f32 v51, -v59, v49, 1.0
	s_mov_b32 vcc_lo, s0
	.loc	1 50 30                         ; attention_fwd.py:50:30
	v_add3_u32 v47, v46, v47, 0x7fff
	.loc	1 48 16                         ; attention_fwd.py:48:16
	s_wait_alu depctr_sa_sdst(0)
	v_div_fmas_f32 v48, v48, v58, v54
	v_dual_mul_f32 v52, v50, v55 :: v_dual_fmac_f32 v49, v51, v49
	v_div_scale_f32 v51, s0, v43, v131, v43
	v_div_scale_f32 v54, null, v131, v131, v42
	s_delay_alu instid0(VALU_DEP_4) | instskip(NEXT) | instid1(VALU_DEP_4)
	v_div_fixup_f32 v45, v48, v131, v45
	v_fma_f32 v48, -v53, v52, v50
	s_delay_alu instid0(VALU_DEP_4) | instskip(NEXT) | instid1(VALU_DEP_4)
	v_mul_f32_e32 v56, v51, v49
	v_rcp_f32_e32 v57, v54
	.loc	1 50 30                         ; attention_fwd.py:50:30
	v_lshrrev_b32_e32 v47, 16, v47
	v_cmp_o_f32_e32 vcc_lo, v46, v46
	.loc	1 48 16                         ; attention_fwd.py:48:16
	v_fmac_f32_e32 v52, v48, v55
	v_fma_f32 v48, -v59, v56, v51
	.loc	1 50 30                         ; attention_fwd.py:50:30
	v_bfe_u32 v58, v45, 16, 1
	.loc	1 49 51                         ; attention_fwd.py:49:51
	v_ashrrev_i32_e32 v61, 31, v60
	.loc	1 50 30                         ; attention_fwd.py:50:30
	s_wait_alu depctr_va_vcc(0)
	v_cndmask_b32_e32 v92, 0x7fff, v47, vcc_lo
	.loc	1 48 16                         ; attention_fwd.py:48:16
	v_fma_f32 v47, -v53, v52, v50
	v_fmac_f32_e32 v56, v48, v49
	v_fma_f32 v48, -v54, v57, 1.0
	v_div_scale_f32 v50, null, v131, v131, v41
	s_mov_b32 vcc_lo, s1
	v_fma_f32 v51, -v59, v56, v51
	v_fmac_f32_e32 v57, v48, v57
	v_rcp_f32_e32 v48, v50
	s_wait_alu depctr_sa_sdst(0)
	v_div_fmas_f32 v47, v47, v55, v52
	v_div_scale_f32 v52, s1, v42, v131, v42
	s_mov_b32 vcc_lo, s0
	v_div_scale_f32 v55, null, v131, v131, v40
	v_div_fixup_f32 v44, v47, v131, v44
	s_wait_alu depctr_sa_sdst(0)
	v_div_fmas_f32 v47, v51, v49, v56
	v_mul_f32_e32 v49, v52, v57
	v_fma_f32 v53, -v50, v48, 1.0
	v_rcp_f32_e32 v56, v55
	.loc	1 50 30                         ; attention_fwd.py:50:30
	v_bfe_u32 v51, v44, 16, 1
	.loc	1 48 16                         ; attention_fwd.py:48:16
	v_div_fixup_f32 v43, v47, v131, v43
	v_fma_f32 v47, -v54, v49, v52
	v_fmac_f32_e32 v48, v53, v48
	v_div_scale_f32 v53, s0, v41, v131, v41
	.loc	1 50 30                         ; attention_fwd.py:50:30
	v_add3_u32 v46, v45, v58, 0x7fff
	v_add3_u32 v51, v44, v51, 0x7fff
	.loc	1 48 16                         ; attention_fwd.py:48:16
	v_fmac_f32_e32 v49, v47, v57
	s_delay_alu instid0(VALU_DEP_4)
	v_mul_f32_e32 v47, v53, v48
	.loc	1 50 30                         ; attention_fwd.py:50:30
	v_cmp_o_f32_e32 vcc_lo, v45, v45
	v_lshrrev_b32_e32 v46, 16, v46
	v_bfe_u32 v58, v43, 16, 1
	v_lshrrev_b32_e32 v45, 16, v51
	.loc	1 48 16                         ; attention_fwd.py:48:16
	v_fma_f32 v51, -v54, v49, v52
	v_fma_f32 v52, -v50, v47, v53
	v_fma_f32 v54, -v55, v56, 1.0
	.loc	1 50 30                         ; attention_fwd.py:50:30
	s_wait_alu depctr_va_vcc(0)
	v_cndmask_b32_e32 v130, 0x7fff, v46, vcc_lo
	.loc	1 48 16                         ; attention_fwd.py:48:16
	s_mov_b32 vcc_lo, s1
	.loc	1 50 30                         ; attention_fwd.py:50:30
	v_add3_u32 v46, v43, v58, 0x7fff
	.loc	1 48 16                         ; attention_fwd.py:48:16
	s_wait_alu depctr_sa_sdst(0)
	v_div_fmas_f32 v49, v51, v57, v49
	v_div_scale_f32 v51, null, v131, v131, v39
	v_fmac_f32_e32 v47, v52, v48
	v_fmac_f32_e32 v56, v54, v56
	v_div_scale_f32 v52, s1, v40, v131, v40
	.loc	1 50 30                         ; attention_fwd.py:50:30
	v_cmp_o_f32_e32 vcc_lo, v44, v44
	.loc	1 48 16                         ; attention_fwd.py:48:16
	v_rcp_f32_e32 v54, v51
	.loc	1 50 30                         ; attention_fwd.py:50:30
	v_lshrrev_b32_e32 v44, 16, v46
	s_delay_alu instid0(VALU_DEP_3)
	.loc	1 48 16                         ; attention_fwd.py:48:16
	v_mul_f32_e32 v46, v52, v56
	v_div_fixup_f32 v42, v49, v131, v42
	.loc	1 50 30                         ; attention_fwd.py:50:30
	s_wait_alu depctr_va_vcc(0)
	v_cndmask_b32_e32 v133, 0x7fff, v45, vcc_lo
	.loc	1 48 16                         ; attention_fwd.py:48:16
	v_fma_f32 v45, -v50, v47, v53
	s_mov_b32 vcc_lo, s0
	.loc	1 49 69                         ; attention_fwd.py:49:69
	v_mul_lo_u32 v58, s5, v80
	.loc	1 48 16                         ; attention_fwd.py:48:16
	v_rcp_f32_e32 v80, v78
	.loc	1 49 51                         ; attention_fwd.py:49:51
	v_lshlrev_b64_e32 v[60:61], 1, v[60:61]
	.loc	1 48 16                         ; attention_fwd.py:48:16
	s_wait_alu depctr_sa_sdst(0)
	v_div_fmas_f32 v45, v45, v48, v47
	v_fma_f32 v47, -v55, v46, v52
	v_fma_f32 v48, -v51, v54, 1.0
	.loc	1 50 30                         ; attention_fwd.py:50:30
	v_cmp_o_f32_e32 vcc_lo, v43, v43
	v_bfe_u32 v43, v42, 16, 1
	.loc	1 48 16                         ; attention_fwd.py:48:16
	v_div_fixup_f32 v41, v45, v131, v41
	v_fmac_f32_e32 v46, v47, v56
	v_fmac_f32_e32 v54, v48, v54
	.loc	1 50 30                         ; attention_fwd.py:50:30
	s_wait_alu depctr_va_vcc(0)
	v_cndmask_b32_e32 v134, 0x7fff, v44, vcc_lo
	.loc	1 48 16                         ; attention_fwd.py:48:16
	v_div_scale_f32 v44, s0, v39, v131, v39
	v_div_scale_f32 v45, null, v131, v131, v38
	v_fma_f32 v48, -v55, v46, v52
	s_mov_b32 vcc_lo, s1
	s_delay_alu instid0(VALU_DEP_3) | instskip(NEXT) | instid1(VALU_DEP_3)
	v_mul_f32_e32 v49, v44, v54
	v_rcp_f32_e32 v50, v45
	v_div_scale_f32 v52, null, v131, v131, v37
	s_wait_alu depctr_sa_sdst(0)
	v_div_fmas_f32 v46, v48, v56, v46
	.loc	1 50 30                         ; attention_fwd.py:50:30
	v_bfe_u32 v47, v41, 16, 1
	.loc	1 48 16                         ; attention_fwd.py:48:16
	v_fma_f32 v48, -v51, v49, v44
	.loc	1 50 30                         ; attention_fwd.py:50:30
	v_add3_u32 v43, v42, v43, 0x7fff
	v_cmp_o_f32_e32 vcc_lo, v42, v42
	.loc	1 48 16                         ; attention_fwd.py:48:16
	v_div_fixup_f32 v40, v46, v131, v40
	v_rcp_f32_e32 v46, v52
	.loc	1 50 30                         ; attention_fwd.py:50:30
	v_add3_u32 v47, v41, v47, 0x7fff
	.loc	1 48 16                         ; attention_fwd.py:48:16
	v_fmac_f32_e32 v49, v48, v54
	v_fma_f32 v48, -v45, v50, 1.0
	.loc	1 50 30                         ; attention_fwd.py:50:30
	v_lshrrev_b32_e32 v43, 16, v43
	.loc	1 49 69                         ; attention_fwd.py:49:69
	v_mul_lo_u32 v56, s5, v82
	.loc	1 50 30                         ; attention_fwd.py:50:30
	v_lshrrev_b32_e32 v42, 16, v47
	.loc	1 48 16                         ; attention_fwd.py:48:16
	v_fma_f32 v44, -v51, v49, v44
	v_fmac_f32_e32 v50, v48, v50
	v_div_scale_f32 v47, s1, v38, v131, v38
	v_fma_f32 v48, -v52, v46, 1.0
	v_div_scale_f32 v51, null, v131, v131, v36
	.loc	1 50 30                         ; attention_fwd.py:50:30
	s_wait_alu depctr_va_vcc(0)
	v_cndmask_b32_e32 v139, 0x7fff, v43, vcc_lo
	.loc	1 48 16                         ; attention_fwd.py:48:16
	s_mov_b32 vcc_lo, s0
	.loc	1 50 30                         ; attention_fwd.py:50:30
	v_bfe_u32 v43, v40, 16, 1
	.loc	1 48 16                         ; attention_fwd.py:48:16
	s_wait_alu depctr_sa_sdst(0)
	v_div_fmas_f32 v44, v44, v54, v49
	v_mul_f32_e32 v49, v47, v50
	v_fmac_f32_e32 v46, v48, v46
	v_div_scale_f32 v48, s0, v37, v131, v37
	v_rcp_f32_e32 v53, v51
	.loc	1 50 30                         ; attention_fwd.py:50:30
	v_add3_u32 v43, v40, v43, 0x7fff
	.loc	1 48 16                         ; attention_fwd.py:48:16
	v_div_fixup_f32 v39, v44, v131, v39
	v_fma_f32 v44, -v45, v49, v47
	v_mul_f32_e32 v54, v48, v46
	.loc	1 50 30                         ; attention_fwd.py:50:30
	v_cmp_o_f32_e32 vcc_lo, v41, v41
	v_lshrrev_b32_e32 v41, 16, v43
	.loc	1 48 16                         ; attention_fwd.py:48:16
	v_div_scale_f32 v82, null, v131, v131, v1
	v_fmac_f32_e32 v49, v44, v50
	.loc	1 50 30                         ; attention_fwd.py:50:30
	s_wait_alu depctr_va_vcc(0)
	v_cndmask_b32_e32 v143, 0x7fff, v42, vcc_lo
	v_bfe_u32 v42, v39, 16, 1
	.loc	1 48 16                         ; attention_fwd.py:48:16
	v_fma_f32 v43, -v52, v54, v48
	v_fma_f32 v44, -v51, v53, 1.0
	.loc	1 50 30                         ; attention_fwd.py:50:30
	v_cmp_o_f32_e32 vcc_lo, v40, v40
	.loc	1 49 51                         ; attention_fwd.py:49:51
	v_ashrrev_i32_e32 v57, 31, v56
	.loc	1 50 30                         ; attention_fwd.py:50:30
	v_add3_u32 v40, v39, v42, 0x7fff
	s_delay_alu instid0(VALU_DEP_4)
	.loc	1 48 16                         ; attention_fwd.py:48:16
	v_dual_fmac_f32 v54, v43, v46 :: v_dual_fmac_f32 v53, v44, v53
	.loc	1 50 30                         ; attention_fwd.py:50:30
	s_wait_alu depctr_va_vcc(0)
	v_cndmask_b32_e32 v144, 0x7fff, v41, vcc_lo
	.loc	1 48 16                         ; attention_fwd.py:48:16
	v_fma_f32 v41, -v45, v49, v47
	v_div_scale_f32 v42, s2, v36, v131, v36
	v_div_scale_f32 v43, null, v131, v131, v35
	s_mov_b32 vcc_lo, s1
	v_fma_f32 v44, -v52, v54, v48
	s_wait_alu depctr_sa_sdst(0)
	v_div_fmas_f32 v41, v41, v50, v49
	v_rcp_f32_e32 v45, v43
	v_mul_f32_e32 v47, v42, v53
	s_mov_b32 vcc_lo, s0
	.loc	1 50 30                         ; attention_fwd.py:50:30
	v_lshrrev_b32_e32 v40, 16, v40
	.loc	1 48 16                         ; attention_fwd.py:48:16
	v_div_fixup_f32 v38, v41, v131, v38
	s_wait_alu depctr_sa_sdst(0)
	v_div_fmas_f32 v41, v44, v46, v54
	v_fma_f32 v44, -v51, v47, v42
	.loc	1 50 30                         ; attention_fwd.py:50:30
	v_cmp_o_f32_e32 vcc_lo, v39, v39
	.loc	1 49 69                         ; attention_fwd.py:49:69
	v_mul_lo_u32 v50, s5, v86
	.loc	1 50 30                         ; attention_fwd.py:50:30
	v_bfe_u32 v39, v38, 16, 1
	.loc	1 48 16                         ; attention_fwd.py:48:16
	v_div_fixup_f32 v37, v41, v131, v37
	s_wait_alu depctr_va_vcc(0)
	v_dual_fmac_f32 v47, v44, v53 :: v_dual_cndmask_b32 v146, 0x7fff, v40
	v_fma_f32 v40, -v43, v45, 1.0
	v_div_scale_f32 v41, null, v131, v131, v34
	s_delay_alu instid0(VALU_DEP_3) | instskip(SKIP_1) | instid1(VALU_DEP_3)
	v_fma_f32 v42, -v51, v47, v42
	s_mov_b32 vcc_lo, s2
	v_fmac_f32_e32 v45, v40, v45
	v_div_scale_f32 v40, s0, v35, v131, v35
	v_rcp_f32_e32 v44, v41
	s_wait_alu depctr_sa_sdst(0)
	v_div_fmas_f32 v42, v42, v53, v47
	.loc	1 50 30                         ; attention_fwd.py:50:30
	v_add3_u32 v39, v38, v39, 0x7fff
	.loc	1 48 16                         ; attention_fwd.py:48:16
	v_mul_f32_e32 v48, v40, v45
	.loc	1 50 30                         ; attention_fwd.py:50:30
	v_bfe_u32 v46, v37, 16, 1
	v_cmp_o_f32_e32 vcc_lo, v38, v38
	.loc	1 48 16                         ; attention_fwd.py:48:16
	v_div_fixup_f32 v36, v42, v131, v36
	v_div_scale_f32 v42, null, v131, v131, v33
	v_fma_f32 v47, -v43, v48, v40
	v_fma_f32 v49, -v41, v44, 1.0
	.loc	1 50 30                         ; attention_fwd.py:50:30
	v_lshrrev_b32_e32 v39, 16, v39
	v_add3_u32 v46, v37, v46, 0x7fff
	.loc	1 48 16                         ; attention_fwd.py:48:16
	v_rcp_f32_e32 v86, v82
	v_fmac_f32_e32 v48, v47, v45
	v_fmac_f32_e32 v44, v49, v44
	v_div_scale_f32 v47, s1, v34, v131, v34
	v_rcp_f32_e32 v49, v42
	.loc	1 50 30                         ; attention_fwd.py:50:30
	s_wait_alu depctr_va_vcc(0)
	v_cndmask_b32_e32 v150, 0x7fff, v39, vcc_lo
	.loc	1 48 16                         ; attention_fwd.py:48:16
	v_fma_f32 v39, -v43, v48, v40
	v_mul_f32_e32 v40, v47, v44
	s_mov_b32 vcc_lo, s0
	.loc	1 50 30                         ; attention_fwd.py:50:30
	v_lshrrev_b32_e32 v38, 16, v46
	v_bfe_u32 v43, v36, 16, 1
	.loc	1 48 16                         ; attention_fwd.py:48:16
	s_wait_alu depctr_sa_sdst(0)
	v_div_fmas_f32 v39, v39, v45, v48
	v_fma_f32 v45, -v41, v40, v47
	.loc	1 50 30                         ; attention_fwd.py:50:30
	v_cmp_o_f32_e32 vcc_lo, v37, v37
	.loc	1 48 16                         ; attention_fwd.py:48:16
	v_fma_f32 v46, -v42, v49, 1.0
	.loc	1 50 30                         ; attention_fwd.py:50:30
	v_add3_u32 v37, v36, v43, 0x7fff
	.loc	1 48 16                         ; attention_fwd.py:48:16
	v_div_fixup_f32 v35, v39, v131, v35
	s_wait_alu depctr_va_vcc(0)
	v_dual_fmac_f32 v40, v45, v44 :: v_dual_cndmask_b32 v151, 0x7fff, v38
	v_fmac_f32_e32 v49, v46, v49
	v_div_scale_f32 v38, s0, v33, v131, v33
	v_div_scale_f32 v39, null, v131, v131, v32
	s_delay_alu instid0(VALU_DEP_4) | instskip(NEXT) | instid1(VALU_DEP_3)
	v_fma_f32 v41, -v41, v40, v47
	v_mul_f32_e32 v45, v38, v49
	s_mov_b32 vcc_lo, s1
	s_delay_alu instid0(VALU_DEP_3)
	v_rcp_f32_e32 v46, v39
	.loc	1 50 30                         ; attention_fwd.py:50:30
	v_lshrrev_b32_e32 v37, 16, v37
	.loc	1 48 16                         ; attention_fwd.py:48:16
	s_wait_alu depctr_sa_sdst(0)
	v_div_fmas_f32 v40, v41, v44, v40
	v_fma_f32 v41, -v42, v45, v38
	.loc	1 50 30                         ; attention_fwd.py:50:30
	v_bfe_u32 v43, v35, 16, 1
	v_cmp_o_f32_e32 vcc_lo, v36, v36
	.loc	1 49 69                         ; attention_fwd.py:49:69
	v_mul_lo_u32 v48, s5, v88
	.loc	1 48 16                         ; attention_fwd.py:48:16
	v_div_fixup_f32 v34, v40, v131, v34
	v_fmac_f32_e32 v45, v41, v49
	.loc	1 50 30                         ; attention_fwd.py:50:30
	v_add3_u32 v36, v35, v43, 0x7fff
	s_wait_alu depctr_va_vcc(0)
	v_cndmask_b32_e32 v154, 0x7fff, v37, vcc_lo
	.loc	1 48 16                         ; attention_fwd.py:48:16
	v_fma_f32 v37, -v39, v46, 1.0
	s_mov_b32 vcc_lo, s0
	v_fma_f32 v38, -v42, v45, v38
	v_div_scale_f32 v40, null, v131, v131, v31
	.loc	1 50 30                         ; attention_fwd.py:50:30
	v_lshrrev_b32_e32 v36, 16, v36
	.loc	1 48 16                         ; attention_fwd.py:48:16
	v_fmac_f32_e32 v46, v37, v46
	v_div_scale_f32 v42, s1, v32, v131, v32
	s_wait_alu depctr_sa_sdst(0)
	v_div_fmas_f32 v38, v38, v49, v45
	.loc	1 50 30                         ; attention_fwd.py:50:30
	v_cmp_o_f32_e32 vcc_lo, v35, v35
	v_bfe_u32 v41, v34, 16, 1
	.loc	1 48 16                         ; attention_fwd.py:48:16
	v_rcp_f32_e32 v37, v40
	v_fma_f32 v88, -v78, v80, 1.0
	v_div_fixup_f32 v33, v38, v131, v33
	.loc	1 50 30                         ; attention_fwd.py:50:30
	s_wait_alu depctr_va_vcc(0)
	v_cndmask_b32_e32 v156, 0x7fff, v36, vcc_lo
	.loc	1 48 16                         ; attention_fwd.py:48:16
	v_mul_f32_e32 v36, v42, v46
	.loc	1 50 30                         ; attention_fwd.py:50:30
	v_add3_u32 v35, v34, v41, 0x7fff
	.loc	1 48 16                         ; attention_fwd.py:48:16
	v_div_scale_f32 v38, null, v131, v131, v30
	.loc	1 50 30                         ; attention_fwd.py:50:30
	v_cmp_o_f32_e32 vcc_lo, v34, v34
	s_delay_alu instid0(VALU_DEP_4) | instskip(SKIP_4) | instid1(VALU_DEP_3)
	.loc	1 48 16                         ; attention_fwd.py:48:16
	v_fma_f32 v43, -v39, v36, v42
	v_fma_f32 v41, -v40, v37, 1.0
	.loc	1 50 30                         ; attention_fwd.py:50:30
	v_lshrrev_b32_e32 v35, 16, v35
	.loc	1 48 16                         ; attention_fwd.py:48:16
	v_rcp_f32_e32 v44, v38
	.loc	1 50 30                         ; attention_fwd.py:50:30
	v_bfe_u32 v45, v33, 16, 1
	.loc	1 48 16                         ; attention_fwd.py:48:16
	v_dual_fmac_f32 v36, v43, v46 :: v_dual_fmac_f32 v37, v41, v37
	v_div_scale_f32 v41, s0, v31, v131, v31
	.loc	1 50 30                         ; attention_fwd.py:50:30
	s_wait_alu depctr_va_vcc(0)
	v_cndmask_b32_e32 v158, 0x7fff, v35, vcc_lo
	s_delay_alu instid0(VALU_DEP_3) | instskip(SKIP_2) | instid1(TRANS32_DEP_1)
	.loc	1 48 16                         ; attention_fwd.py:48:16
	v_fma_f32 v35, -v39, v36, v42
	s_mov_b32 vcc_lo, s1
	v_mul_f32_e32 v43, v41, v37
	v_fma_f32 v42, -v38, v44, 1.0
	.loc	1 50 30                         ; attention_fwd.py:50:30
	v_add3_u32 v34, v33, v45, 0x7fff
	.loc	1 48 16                         ; attention_fwd.py:48:16
	s_wait_alu depctr_sa_sdst(0)
	v_div_fmas_f32 v35, v35, v46, v36
	s_mov_b32 vcc_lo, s0
	v_fma_f32 v39, -v40, v43, v41
	v_fmac_f32_e32 v44, v42, v44
	v_div_scale_f32 v36, null, v131, v131, v29
	v_div_fixup_f32 v32, v35, v131, v32
	s_delay_alu instid0(VALU_DEP_4) | instskip(SKIP_1) | instid1(VALU_DEP_4)
	v_fmac_f32_e32 v43, v39, v37
	v_div_scale_f32 v39, s1, v30, v131, v30
	v_rcp_f32_e32 v35, v36
	s_delay_alu instid0(VALU_DEP_3) | instskip(NEXT) | instid1(VALU_DEP_3)
	.loc	1 50 30                         ; attention_fwd.py:50:30
	v_bfe_u32 v42, v32, 16, 1
	.loc	1 48 16                         ; attention_fwd.py:48:16
	v_fma_f32 v40, -v40, v43, v41
	.loc	1 50 30                         ; attention_fwd.py:50:30
	v_lshrrev_b32_e32 v34, 16, v34
	.loc	1 49 69                         ; attention_fwd.py:49:69
	v_mul_lo_u32 v46, s5, v90
	v_mul_lo_u32 v52, s5, v85
	.loc	1 50 30                         ; attention_fwd.py:50:30
	v_add3_u32 v42, v32, v42, 0x7fff
	.loc	1 48 16                         ; attention_fwd.py:48:16
	s_wait_alu depctr_sa_sdst(0)
	v_div_fmas_f32 v37, v40, v37, v43
	v_div_scale_f32 v43, null, v131, v131, v28
	.loc	1 50 30                         ; attention_fwd.py:50:30
	v_cmp_o_f32_e32 vcc_lo, v33, v33
	v_lshrrev_b32_e32 v33, 16, v42
	.loc	1 48 16                         ; attention_fwd.py:48:16
	v_mul_f32_e32 v41, v39, v44
	v_div_fixup_f32 v31, v37, v131, v31
	v_rcp_f32_e32 v37, v43
	.loc	1 50 30                         ; attention_fwd.py:50:30
	s_wait_alu depctr_va_vcc(0)
	v_cndmask_b32_e32 v159, 0x7fff, v34, vcc_lo
	.loc	1 48 16                         ; attention_fwd.py:48:16
	s_mov_b32 vcc_lo, s1
	v_fma_f32 v40, -v38, v41, v39
	v_fma_f32 v45, -v36, v35, 1.0
	.loc	1 50 30                         ; attention_fwd.py:50:30
	v_bfe_u32 v34, v31, 16, 1
	.loc	1 49 51                         ; attention_fwd.py:49:51
	v_ashrrev_i32_e32 v47, 31, v46
	.loc	1 49 69 is_stmt 0               ; attention_fwd.py:49:69
	v_mul_lo_u32 v54, s5, v84
	.loc	1 48 16 is_stmt 1               ; attention_fwd.py:48:16
	v_fmac_f32_e32 v41, v40, v44
	v_div_scale_f32 v40, s0, v29, v131, v29
	v_fma_f32 v42, -v43, v37, 1.0
	.loc	1 50 30                         ; attention_fwd.py:50:30
	v_add3_u32 v34, v31, v34, 0x7fff
	s_delay_alu instid0(VALU_DEP_4)
	.loc	1 48 16                         ; attention_fwd.py:48:16
	v_fma_f32 v38, -v38, v41, v39
	.loc	1 49 51                         ; attention_fwd.py:49:51
	v_ashrrev_i32_e32 v49, 31, v48
	v_ashrrev_i32_e32 v51, 31, v50
	.loc	1 48 16                         ; attention_fwd.py:48:16
	v_fmac_f32_e32 v37, v42, v37
	v_div_scale_f32 v42, s1, v28, v131, v28
	s_wait_alu depctr_sa_sdst(0)
	v_div_fmas_f32 v38, v38, v44, v41
	v_div_scale_f32 v44, null, v131, v131, v27
	.loc	1 50 30                         ; attention_fwd.py:50:30
	v_cmp_o_f32_e32 vcc_lo, v32, v32
	v_lshrrev_b32_e32 v32, 16, v34
	s_delay_alu instid0(VALU_DEP_4)
	.loc	1 48 16                         ; attention_fwd.py:48:16
	v_div_fixup_f32 v30, v38, v131, v30
	v_dual_mul_f32 v38, v42, v37 :: v_dual_fmac_f32 v35, v45, v35
	v_rcp_f32_e32 v45, v44
	.loc	1 50 30                         ; attention_fwd.py:50:30
	s_wait_alu depctr_va_vcc(0)
	v_cndmask_b32_e32 v160, 0x7fff, v33, vcc_lo
	.loc	1 48 16                         ; attention_fwd.py:48:16
	s_mov_b32 vcc_lo, s0
	.loc	1 50 30                         ; attention_fwd.py:50:30
	v_bfe_u32 v33, v30, 16, 1
	.loc	1 48 16                         ; attention_fwd.py:48:16
	v_mul_f32_e32 v39, v40, v35
	.loc	1 49 51                         ; attention_fwd.py:49:51
	v_lshlrev_b64_e32 v[46:47], 1, v[46:47]
	v_ashrrev_i32_e32 v53, 31, v52
	v_lshlrev_b64_e32 v[48:49], 1, v[48:49]
	.loc	1 50 30                         ; attention_fwd.py:50:30
	v_add3_u32 v33, v30, v33, 0x7fff
	.loc	1 48 16                         ; attention_fwd.py:48:16
	v_fma_f32 v41, -v36, v39, v40
	.loc	1 49 51                         ; attention_fwd.py:49:51
	v_ashrrev_i32_e32 v55, 31, v54
	.loc	1 49 69 is_stmt 0               ; attention_fwd.py:49:69
	v_mul_lo_u32 v84, s5, v76
	.loc	1 49 51                         ; attention_fwd.py:49:51
	v_lshlrev_b64_e32 v[50:51], 1, v[50:51]
	v_lshlrev_b64_e32 v[52:53], 1, v[52:53]
	.loc	1 48 16 is_stmt 1               ; attention_fwd.py:48:16
	v_fmac_f32_e32 v39, v41, v35
	.loc	1 49 51                         ; attention_fwd.py:49:51
	v_ashrrev_i32_e32 v59, 31, v58
	.loc	1 49 69 is_stmt 0               ; attention_fwd.py:49:69
	v_mul_lo_u32 v90, s5, v126
	.loc	1 49 51                         ; attention_fwd.py:49:51
	v_lshlrev_b64_e32 v[54:55], 1, v[54:55]
	v_lshlrev_b64_e32 v[56:57], 1, v[56:57]
	.loc	1 48 16 is_stmt 1               ; attention_fwd.py:48:16
	v_fma_f32 v34, -v36, v39, v40
	v_fma_f32 v36, -v43, v38, v42
	v_fma_f32 v40, -v44, v45, 1.0
	.loc	1 49 51                         ; attention_fwd.py:49:51
	v_ashrrev_i32_e32 v85, 31, v84
	v_lshlrev_b64_e32 v[58:59], 1, v[58:59]
	v_ashrrev_i32_e32 v76, 31, v75
	.loc	1 48 16                         ; attention_fwd.py:48:16
	v_fmac_f32_e32 v38, v36, v37
	s_wait_alu depctr_sa_sdst(0)
	v_div_fmas_f32 v34, v34, v35, v39
	v_fmac_f32_e32 v45, v40, v45
	v_div_scale_f32 v35, s0, v27, v131, v27
	v_div_scale_f32 v36, null, v131, v131, v26
	s_delay_alu instid0(VALU_DEP_4) | instskip(SKIP_1) | instid1(VALU_DEP_4)
	v_div_fixup_f32 v29, v34, v131, v29
	v_fma_f32 v34, -v43, v38, v42
	v_mul_f32_e32 v39, v35, v45
	s_delay_alu instid0(VALU_DEP_4)
	v_rcp_f32_e32 v40, v36
	s_mov_b32 vcc_lo, s1
	.loc	1 49 69                         ; attention_fwd.py:49:69
	v_mul_lo_u32 v42, s5, v93
	.loc	1 48 16                         ; attention_fwd.py:48:16
	s_wait_alu depctr_sa_sdst(0)
	v_div_fmas_f32 v34, v34, v37, v38
	v_fma_f32 v38, -v44, v39, v35
	.loc	1 50 30                         ; attention_fwd.py:50:30
	v_bfe_u32 v37, v29, 16, 1
	v_cmp_o_f32_e32 vcc_lo, v31, v31
	v_lshrrev_b32_e32 v31, 16, v33
	.loc	1 48 16                         ; attention_fwd.py:48:16
	v_div_fixup_f32 v28, v34, v131, v28
	v_fmac_f32_e32 v39, v38, v45
	v_fma_f32 v33, -v36, v40, 1.0
	.loc	1 50 30                         ; attention_fwd.py:50:30
	s_wait_alu depctr_va_vcc(0)
	v_cndmask_b32_e32 v161, 0x7fff, v32, vcc_lo
	v_add3_u32 v32, v29, v37, 0x7fff
	.loc	1 48 16                         ; attention_fwd.py:48:16
	v_div_scale_f32 v37, null, v131, v131, v25
	v_fma_f32 v35, -v44, v39, v35
	v_fmac_f32_e32 v40, v33, v40
	v_div_scale_f32 v33, s1, v26, v131, v26
	s_mov_b32 vcc_lo, s0
	v_rcp_f32_e32 v38, v37
	s_wait_alu depctr_sa_sdst(0)
	v_div_fmas_f32 v35, v35, v45, v39
	v_mul_f32_e32 v39, v33, v40
	.loc	1 50 30                         ; attention_fwd.py:50:30
	v_bfe_u32 v34, v28, 16, 1
	v_cmp_o_f32_e32 vcc_lo, v30, v30
	v_lshrrev_b32_e32 v30, 16, v32
	.loc	1 48 16                         ; attention_fwd.py:48:16
	v_div_fixup_f32 v27, v35, v131, v27
	v_fma_f32 v32, -v36, v39, v33
	.loc	1 49 69                         ; attention_fwd.py:49:69
	v_mul_lo_u32 v44, s5, v91
	.loc	1 50 30                         ; attention_fwd.py:50:30
	s_wait_alu depctr_va_vcc(0)
	v_cndmask_b32_e32 v162, 0x7fff, v31, vcc_lo
	v_add3_u32 v31, v28, v34, 0x7fff
	.loc	1 48 16                         ; attention_fwd.py:48:16
	v_fma_f32 v34, -v37, v38, 1.0
	v_fmac_f32_e32 v39, v32, v40
	.loc	1 50 30                         ; attention_fwd.py:50:30
	v_cmp_o_f32_e32 vcc_lo, v29, v29
	.loc	1 49 51                         ; attention_fwd.py:49:51
	v_ashrrev_i32_e32 v43, 31, v42
	.loc	1 50 30                         ; attention_fwd.py:50:30
	v_lshrrev_b32_e32 v29, 16, v31
	.loc	1 48 16                         ; attention_fwd.py:48:16
	v_fmac_f32_e32 v38, v34, v38
	v_div_scale_f32 v31, s0, v25, v131, v25
	v_fma_f32 v32, -v36, v39, v33
	v_div_scale_f32 v33, null, v131, v131, v24
	.loc	1 50 30                         ; attention_fwd.py:50:30
	s_wait_alu depctr_va_vcc(0)
	v_cndmask_b32_e32 v163, 0x7fff, v30, vcc_lo
	.loc	1 48 16                         ; attention_fwd.py:48:16
	s_mov_b32 vcc_lo, s1
	.loc	1 50 30                         ; attention_fwd.py:50:30
	v_bfe_u32 v30, v27, 16, 1
	.loc	1 48 16                         ; attention_fwd.py:48:16
	v_mul_f32_e32 v34, v31, v38
	s_wait_alu depctr_sa_sdst(0)
	v_div_fmas_f32 v32, v32, v40, v39
	v_rcp_f32_e32 v35, v33
	v_div_scale_f32 v39, null, v131, v131, v23
	.loc	1 50 30                         ; attention_fwd.py:50:30
	v_cmp_o_f32_e32 vcc_lo, v28, v28
	v_add3_u32 v30, v27, v30, 0x7fff
	.loc	1 48 16                         ; attention_fwd.py:48:16
	v_fma_f32 v36, -v37, v34, v31
	v_div_fixup_f32 v26, v32, v131, v26
	.loc	1 49 69                         ; attention_fwd.py:49:69
	v_mul_lo_u32 v40, s5, v94
	.loc	1 50 30                         ; attention_fwd.py:50:30
	s_wait_alu depctr_va_vcc(0)
	v_cndmask_b32_e32 v164, 0x7fff, v29, vcc_lo
	.loc	1 48 16                         ; attention_fwd.py:48:16
	v_rcp_f32_e32 v29, v39
	.loc	1 50 30                         ; attention_fwd.py:50:30
	v_lshrrev_b32_e32 v28, 16, v30
	.loc	1 48 16                         ; attention_fwd.py:48:16
	v_fmac_f32_e32 v34, v36, v38
	v_fma_f32 v30, -v33, v35, 1.0
	.loc	1 50 30                         ; attention_fwd.py:50:30
	v_cmp_o_f32_e32 vcc_lo, v27, v27
	v_bfe_u32 v27, v26, 16, 1
	.loc	1 49 51                         ; attention_fwd.py:49:51
	v_ashrrev_i32_e32 v41, 31, v40
	v_ashrrev_i32_e32 v45, 31, v44
	.loc	1 48 16                         ; attention_fwd.py:48:16
	v_fmac_f32_e32 v35, v30, v35
	.loc	1 50 30                         ; attention_fwd.py:50:30
	s_wait_alu depctr_va_vcc(0)
	v_cndmask_b32_e32 v165, 0x7fff, v28, vcc_lo
	.loc	1 48 16                         ; attention_fwd.py:48:16
	v_fma_f32 v28, -v37, v34, v31
	v_div_scale_f32 v30, s1, v24, v131, v24
	v_fma_f32 v31, -v39, v29, 1.0
	s_mov_b32 vcc_lo, s0
	.loc	1 50 30                         ; attention_fwd.py:50:30
	v_add3_u32 v27, v26, v27, 0x7fff
	.loc	1 48 16                         ; attention_fwd.py:48:16
	s_wait_alu depctr_sa_sdst(0)
	v_div_fmas_f32 v28, v28, v38, v34
	v_dual_mul_f32 v32, v30, v35 :: v_dual_fmac_f32 v29, v31, v29
	v_div_scale_f32 v31, s0, v23, v131, v23
	v_div_scale_f32 v34, null, v131, v131, v22
	s_delay_alu instid0(VALU_DEP_4) | instskip(NEXT) | instid1(VALU_DEP_4)
	v_div_fixup_f32 v25, v28, v131, v25
	v_fma_f32 v28, -v33, v32, v30
	s_delay_alu instid0(VALU_DEP_4) | instskip(NEXT) | instid1(VALU_DEP_4)
	v_mul_f32_e32 v36, v31, v29
	v_rcp_f32_e32 v37, v34
	.loc	1 50 30                         ; attention_fwd.py:50:30
	v_lshrrev_b32_e32 v27, 16, v27
	v_cmp_o_f32_e32 vcc_lo, v26, v26
	.loc	1 48 16                         ; attention_fwd.py:48:16
	v_fmac_f32_e32 v32, v28, v35
	v_fma_f32 v28, -v39, v36, v31
	.loc	1 50 30                         ; attention_fwd.py:50:30
	v_bfe_u32 v38, v25, 16, 1
	.loc	1 49 51                         ; attention_fwd.py:49:51
	v_lshlrev_b64_e32 v[40:41], 1, v[40:41]
	.loc	1 50 30                         ; attention_fwd.py:50:30
	s_wait_alu depctr_va_vcc(0)
	v_cndmask_b32_e32 v166, 0x7fff, v27, vcc_lo
	.loc	1 48 16                         ; attention_fwd.py:48:16
	v_fma_f32 v27, -v33, v32, v30
	v_fmac_f32_e32 v36, v28, v29
	v_fma_f32 v28, -v34, v37, 1.0
	v_div_scale_f32 v30, null, v131, v131, v21
	s_mov_b32 vcc_lo, s1
	v_fma_f32 v31, -v39, v36, v31
	v_fmac_f32_e32 v37, v28, v37
	v_rcp_f32_e32 v28, v30
	s_wait_alu depctr_sa_sdst(0)
	v_div_fmas_f32 v27, v27, v35, v32
	v_div_scale_f32 v32, s1, v22, v131, v22
	s_mov_b32 vcc_lo, s0
	v_div_scale_f32 v35, null, v131, v131, v20
	v_div_fixup_f32 v24, v27, v131, v24
	s_wait_alu depctr_sa_sdst(0)
	v_div_fmas_f32 v27, v31, v29, v36
	v_mul_f32_e32 v29, v32, v37
	v_fma_f32 v33, -v30, v28, 1.0
	v_rcp_f32_e32 v36, v35
	.loc	1 50 30                         ; attention_fwd.py:50:30
	v_bfe_u32 v31, v24, 16, 1
	.loc	1 48 16                         ; attention_fwd.py:48:16
	v_div_fixup_f32 v23, v27, v131, v23
	v_fma_f32 v27, -v34, v29, v32
	v_fmac_f32_e32 v28, v33, v28
	v_div_scale_f32 v33, s0, v21, v131, v21
	.loc	1 50 30                         ; attention_fwd.py:50:30
	v_add3_u32 v26, v25, v38, 0x7fff
	v_add3_u32 v31, v24, v31, 0x7fff
	.loc	1 48 16                         ; attention_fwd.py:48:16
	v_fmac_f32_e32 v29, v27, v37
	s_delay_alu instid0(VALU_DEP_4)
	v_mul_f32_e32 v27, v33, v28
	.loc	1 50 30                         ; attention_fwd.py:50:30
	v_cmp_o_f32_e32 vcc_lo, v25, v25
	v_lshrrev_b32_e32 v26, 16, v26
	v_bfe_u32 v38, v23, 16, 1
	v_lshrrev_b32_e32 v25, 16, v31
	.loc	1 48 16                         ; attention_fwd.py:48:16
	v_fma_f32 v31, -v34, v29, v32
	v_fma_f32 v32, -v30, v27, v33
	v_fma_f32 v34, -v35, v36, 1.0
	.loc	1 50 30                         ; attention_fwd.py:50:30
	s_wait_alu depctr_va_vcc(0)
	v_cndmask_b32_e32 v167, 0x7fff, v26, vcc_lo
	.loc	1 48 16                         ; attention_fwd.py:48:16
	s_mov_b32 vcc_lo, s1
	.loc	1 50 30                         ; attention_fwd.py:50:30
	v_add3_u32 v26, v23, v38, 0x7fff
	.loc	1 48 16                         ; attention_fwd.py:48:16
	s_wait_alu depctr_sa_sdst(0)
	v_div_fmas_f32 v29, v31, v37, v29
	v_div_scale_f32 v31, null, v131, v131, v19
	v_fmac_f32_e32 v27, v32, v28
	v_fmac_f32_e32 v36, v34, v36
	v_div_scale_f32 v32, s1, v20, v131, v20
	.loc	1 50 30                         ; attention_fwd.py:50:30
	v_cmp_o_f32_e32 vcc_lo, v24, v24
	.loc	1 48 16                         ; attention_fwd.py:48:16
	v_rcp_f32_e32 v34, v31
	.loc	1 50 30                         ; attention_fwd.py:50:30
	v_lshrrev_b32_e32 v24, 16, v26
	s_delay_alu instid0(VALU_DEP_3)
	.loc	1 48 16                         ; attention_fwd.py:48:16
	v_mul_f32_e32 v26, v32, v36
	v_div_fixup_f32 v22, v29, v131, v22
	.loc	1 50 30                         ; attention_fwd.py:50:30
	s_wait_alu depctr_va_vcc(0)
	v_cndmask_b32_e32 v168, 0x7fff, v25, vcc_lo
	.loc	1 48 16                         ; attention_fwd.py:48:16
	v_fma_f32 v25, -v30, v27, v33
	s_mov_b32 vcc_lo, s0
	.loc	1 49 69                         ; attention_fwd.py:49:69
	v_mul_lo_u32 v38, s5, v95
	.loc	1 48 16                         ; attention_fwd.py:48:16
	v_fma_f32 v95, -v82, v86, 1.0
	.loc	1 49 51                         ; attention_fwd.py:49:51
	v_lshlrev_b64_e32 v[42:43], 1, v[42:43]
	.loc	1 48 16                         ; attention_fwd.py:48:16
	s_wait_alu depctr_sa_sdst(0)
	v_div_fmas_f32 v25, v25, v28, v27
	v_fma_f32 v27, -v35, v26, v32
	v_fma_f32 v28, -v31, v34, 1.0
	.loc	1 50 30                         ; attention_fwd.py:50:30
	v_cmp_o_f32_e32 vcc_lo, v23, v23
	v_bfe_u32 v23, v22, 16, 1
	.loc	1 48 16                         ; attention_fwd.py:48:16
	v_div_fixup_f32 v21, v25, v131, v21
	v_fmac_f32_e32 v26, v27, v36
	s_wait_alu depctr_va_vcc(0)
	v_dual_fmac_f32 v34, v28, v34 :: v_dual_cndmask_b32 v169, 0x7fff, v24
	v_div_scale_f32 v24, s0, v19, v131, v19
	v_div_scale_f32 v25, null, v131, v131, v18
	v_fma_f32 v28, -v35, v26, v32
	s_mov_b32 vcc_lo, s1
	s_delay_alu instid0(VALU_DEP_3) | instskip(NEXT) | instid1(VALU_DEP_3)
	v_mul_f32_e32 v29, v24, v34
	v_rcp_f32_e32 v30, v25
	v_div_scale_f32 v32, null, v131, v131, v17
	s_wait_alu depctr_sa_sdst(0)
	v_div_fmas_f32 v26, v28, v36, v26
	.loc	1 50 30                         ; attention_fwd.py:50:30
	v_bfe_u32 v27, v21, 16, 1
	.loc	1 48 16                         ; attention_fwd.py:48:16
	v_fma_f32 v28, -v31, v29, v24
	.loc	1 50 30                         ; attention_fwd.py:50:30
	v_add3_u32 v23, v22, v23, 0x7fff
	v_cmp_o_f32_e32 vcc_lo, v22, v22
	.loc	1 48 16                         ; attention_fwd.py:48:16
	v_div_fixup_f32 v20, v26, v131, v20
	v_rcp_f32_e32 v26, v32
	.loc	1 50 30                         ; attention_fwd.py:50:30
	v_add3_u32 v27, v21, v27, 0x7fff
	.loc	1 48 16                         ; attention_fwd.py:48:16
	v_fmac_f32_e32 v29, v28, v34
	v_fma_f32 v28, -v25, v30, 1.0
	.loc	1 50 30                         ; attention_fwd.py:50:30
	v_lshrrev_b32_e32 v23, 16, v23
	.loc	1 48 16                         ; attention_fwd.py:48:16
	v_fmac_f32_e32 v80, v88, v80
	.loc	1 50 30                         ; attention_fwd.py:50:30
	v_lshrrev_b32_e32 v22, 16, v27
	.loc	1 48 16                         ; attention_fwd.py:48:16
	v_fma_f32 v24, -v31, v29, v24
	v_fmac_f32_e32 v30, v28, v30
	v_div_scale_f32 v27, s1, v18, v131, v18
	v_fma_f32 v28, -v32, v26, 1.0
	v_div_scale_f32 v31, null, v131, v131, v16
	.loc	1 50 30                         ; attention_fwd.py:50:30
	s_wait_alu depctr_va_vcc(0)
	v_cndmask_b32_e32 v170, 0x7fff, v23, vcc_lo
	.loc	1 48 16                         ; attention_fwd.py:48:16
	s_mov_b32 vcc_lo, s0
	.loc	1 50 30                         ; attention_fwd.py:50:30
	v_bfe_u32 v23, v20, 16, 1
	.loc	1 48 16                         ; attention_fwd.py:48:16
	s_wait_alu depctr_sa_sdst(0)
	v_div_fmas_f32 v24, v24, v34, v29
	v_mul_f32_e32 v29, v27, v30
	v_fmac_f32_e32 v26, v28, v26
	v_div_scale_f32 v28, s0, v17, v131, v17
	v_rcp_f32_e32 v33, v31
	.loc	1 50 30                         ; attention_fwd.py:50:30
	v_add3_u32 v23, v20, v23, 0x7fff
	.loc	1 48 16                         ; attention_fwd.py:48:16
	v_div_fixup_f32 v19, v24, v131, v19
	v_fma_f32 v24, -v25, v29, v27
	v_mul_f32_e32 v34, v28, v26
	.loc	1 50 30                         ; attention_fwd.py:50:30
	v_cmp_o_f32_e32 vcc_lo, v21, v21
	v_lshrrev_b32_e32 v21, 16, v23
	.loc	1 48 16                         ; attention_fwd.py:48:16
	v_fmac_f32_e32 v86, v95, v86
	v_fmac_f32_e32 v29, v24, v30
	v_fma_f32 v23, -v32, v34, v28
	.loc	1 50 30                         ; attention_fwd.py:50:30
	s_wait_alu depctr_va_vcc(0)
	v_cndmask_b32_e32 v171, 0x7fff, v22, vcc_lo
	v_bfe_u32 v22, v19, 16, 1
	.loc	1 48 16                         ; attention_fwd.py:48:16
	v_fma_f32 v24, -v31, v33, 1.0
	.loc	1 50 30                         ; attention_fwd.py:50:30
	v_cmp_o_f32_e32 vcc_lo, v20, v20
	.loc	1 48 16                         ; attention_fwd.py:48:16
	v_fmac_f32_e32 v34, v23, v26
	v_div_scale_f32 v23, null, v131, v131, v15
	.loc	1 50 30                         ; attention_fwd.py:50:30
	v_add3_u32 v20, v19, v22, 0x7fff
	s_wait_alu depctr_va_vcc(0)
	v_cndmask_b32_e32 v172, 0x7fff, v21, vcc_lo
	.loc	1 48 16                         ; attention_fwd.py:48:16
	v_fma_f32 v21, -v25, v29, v27
	v_fmac_f32_e32 v33, v24, v33
	v_div_scale_f32 v22, s2, v16, v131, v16
	s_mov_b32 vcc_lo, s1
	v_fma_f32 v24, -v32, v34, v28
	s_wait_alu depctr_sa_sdst(0)
	v_div_fmas_f32 v21, v21, v30, v29
	v_rcp_f32_e32 v25, v23
	v_mul_f32_e32 v27, v22, v33
	s_mov_b32 vcc_lo, s0
	.loc	1 50 30                         ; attention_fwd.py:50:30
	v_lshrrev_b32_e32 v20, 16, v20
	.loc	1 48 16                         ; attention_fwd.py:48:16
	v_div_fixup_f32 v18, v21, v131, v18
	s_wait_alu depctr_sa_sdst(0)
	v_div_fmas_f32 v21, v24, v26, v34
	v_fma_f32 v24, -v31, v27, v22
	.loc	1 50 30                         ; attention_fwd.py:50:30
	v_cmp_o_f32_e32 vcc_lo, v19, v19
	.loc	1 49 69                         ; attention_fwd.py:49:69
	v_mul_lo_u32 v30, s5, v135
	.loc	1 50 30                         ; attention_fwd.py:50:30
	v_bfe_u32 v19, v18, 16, 1
	.loc	1 48 16                         ; attention_fwd.py:48:16
	v_div_fixup_f32 v17, v21, v131, v17
	v_fmac_f32_e32 v27, v24, v33
	.loc	1 50 30                         ; attention_fwd.py:50:30
	s_wait_alu depctr_va_vcc(0)
	v_cndmask_b32_e32 v173, 0x7fff, v20, vcc_lo
	.loc	1 48 16                         ; attention_fwd.py:48:16
	v_fma_f32 v20, -v23, v25, 1.0
	v_div_scale_f32 v21, null, v131, v131, v14
	v_fma_f32 v22, -v31, v27, v22
	s_mov_b32 vcc_lo, s2
	s_delay_alu instid0(VALU_DEP_3)
	v_fmac_f32_e32 v25, v20, v25
	v_div_scale_f32 v20, s0, v15, v131, v15
	v_rcp_f32_e32 v24, v21
	s_wait_alu depctr_sa_sdst(0)
	v_div_fmas_f32 v22, v22, v33, v27
	.loc	1 50 30                         ; attention_fwd.py:50:30
	v_add3_u32 v19, v18, v19, 0x7fff
	.loc	1 48 16                         ; attention_fwd.py:48:16
	v_mul_f32_e32 v28, v20, v25
	.loc	1 50 30                         ; attention_fwd.py:50:30
	v_bfe_u32 v26, v17, 16, 1
	v_cmp_o_f32_e32 vcc_lo, v18, v18
	.loc	1 48 16                         ; attention_fwd.py:48:16
	v_div_fixup_f32 v16, v22, v131, v16
	v_div_scale_f32 v22, null, v131, v131, v13
	v_fma_f32 v27, -v23, v28, v20
	v_fma_f32 v29, -v21, v24, 1.0
	.loc	1 50 30                         ; attention_fwd.py:50:30
	v_lshrrev_b32_e32 v19, 16, v19
	v_add3_u32 v26, v17, v26, 0x7fff
	.loc	1 49 69                         ; attention_fwd.py:49:69
	v_mul_lo_u32 v32, s5, v132
	.loc	1 48 16                         ; attention_fwd.py:48:16
	v_fmac_f32_e32 v28, v27, v25
	v_fmac_f32_e32 v24, v29, v24
	v_div_scale_f32 v27, s1, v14, v131, v14
	v_rcp_f32_e32 v29, v22
	.loc	1 50 30                         ; attention_fwd.py:50:30
	s_wait_alu depctr_va_vcc(0)
	v_cndmask_b32_e32 v174, 0x7fff, v19, vcc_lo
	.loc	1 48 16                         ; attention_fwd.py:48:16
	v_fma_f32 v19, -v23, v28, v20
	v_mul_f32_e32 v20, v27, v24
	s_mov_b32 vcc_lo, s0
	.loc	1 50 30                         ; attention_fwd.py:50:30
	v_lshrrev_b32_e32 v18, 16, v26
	v_bfe_u32 v23, v16, 16, 1
	.loc	1 48 16                         ; attention_fwd.py:48:16
	s_wait_alu depctr_sa_sdst(0)
	v_div_fmas_f32 v19, v19, v25, v28
	v_fma_f32 v25, -v21, v20, v27
	.loc	1 50 30                         ; attention_fwd.py:50:30
	v_cmp_o_f32_e32 vcc_lo, v17, v17
	.loc	1 48 16                         ; attention_fwd.py:48:16
	v_fma_f32 v26, -v22, v29, 1.0
	.loc	1 50 30                         ; attention_fwd.py:50:30
	v_add3_u32 v17, v16, v23, 0x7fff
	.loc	1 48 16                         ; attention_fwd.py:48:16
	v_div_fixup_f32 v15, v19, v131, v15
	s_wait_alu depctr_va_vcc(0)
	v_dual_fmac_f32 v20, v25, v24 :: v_dual_cndmask_b32 v175, 0x7fff, v18
	v_fmac_f32_e32 v29, v26, v29
	v_div_scale_f32 v18, s0, v13, v131, v13
	v_div_scale_f32 v19, null, v131, v131, v12
	s_delay_alu instid0(VALU_DEP_4) | instskip(NEXT) | instid1(VALU_DEP_3)
	v_fma_f32 v21, -v21, v20, v27
	v_mul_f32_e32 v25, v18, v29
	s_mov_b32 vcc_lo, s1
	s_delay_alu instid0(VALU_DEP_3)
	v_rcp_f32_e32 v26, v19
	.loc	1 50 30                         ; attention_fwd.py:50:30
	v_lshrrev_b32_e32 v17, 16, v17
	.loc	1 48 16                         ; attention_fwd.py:48:16
	s_wait_alu depctr_sa_sdst(0)
	v_div_fmas_f32 v20, v21, v24, v20
	v_fma_f32 v21, -v22, v25, v18
	.loc	1 50 30                         ; attention_fwd.py:50:30
	v_cmp_o_f32_e32 vcc_lo, v16, v16
	v_bfe_u32 v23, v15, 16, 1
	.loc	1 49 69                         ; attention_fwd.py:49:69
	v_mul_lo_u32 v28, s5, v136
	.loc	1 48 16                         ; attention_fwd.py:48:16
	v_div_fixup_f32 v14, v20, v131, v14
	v_fmac_f32_e32 v25, v21, v29
	.loc	1 50 30                         ; attention_fwd.py:50:30
	s_wait_alu depctr_va_vcc(0)
	v_cndmask_b32_e32 v176, 0x7fff, v17, vcc_lo
	.loc	1 48 16                         ; attention_fwd.py:48:16
	v_fma_f32 v17, -v19, v26, 1.0
	v_div_scale_f32 v20, null, v131, v131, v11
	.loc	1 50 30                         ; attention_fwd.py:50:30
	v_add3_u32 v16, v15, v23, 0x7fff
	.loc	1 48 16                         ; attention_fwd.py:48:16
	v_fma_f32 v18, -v22, v25, v18
	s_delay_alu instid0(VALU_DEP_4) | instskip(NEXT) | instid1(VALU_DEP_4)
	v_fmac_f32_e32 v26, v17, v26
	v_rcp_f32_e32 v17, v20
	s_mov_b32 vcc_lo, s0
	.loc	1 50 30                         ; attention_fwd.py:50:30
	v_lshrrev_b32_e32 v16, 16, v16
	v_bfe_u32 v21, v14, 16, 1
	.loc	1 48 16                         ; attention_fwd.py:48:16
	v_div_scale_f32 v22, s1, v12, v131, v12
	s_wait_alu depctr_sa_sdst(0)
	v_div_fmas_f32 v18, v18, v29, v25
	.loc	1 50 30                         ; attention_fwd.py:50:30
	v_cmp_o_f32_e32 vcc_lo, v15, v15
	v_add3_u32 v15, v14, v21, 0x7fff
	.loc	1 49 69                         ; attention_fwd.py:49:69
	v_mul_lo_u32 v34, s5, v129
	.loc	1 48 16                         ; attention_fwd.py:48:16
	v_fma_f32 v21, -v20, v17, 1.0
	v_div_fixup_f32 v13, v18, v131, v13
	.loc	1 50 30                         ; attention_fwd.py:50:30
	s_wait_alu depctr_va_vcc(0)
	v_dual_cndmask_b32 v177, 0x7fff, v16 :: v_dual_mul_f32 v16, v22, v26
	.loc	1 48 16                         ; attention_fwd.py:48:16
	v_div_scale_f32 v18, null, v131, v131, v10
	v_fmac_f32_e32 v17, v21, v17
	v_div_scale_f32 v21, s0, v11, v131, v11
	s_delay_alu instid0(VALU_DEP_4) | instskip(NEXT) | instid1(VALU_DEP_4)
	v_fma_f32 v23, -v19, v16, v22
	v_rcp_f32_e32 v24, v18
	.loc	1 50 30                         ; attention_fwd.py:50:30
	v_lshrrev_b32_e32 v15, 16, v15
	v_cmp_o_f32_e32 vcc_lo, v14, v14
	v_bfe_u32 v25, v13, 16, 1
	.loc	1 48 16                         ; attention_fwd.py:48:16
	v_dual_fmac_f32 v16, v23, v26 :: v_dual_mul_f32 v23, v21, v17
	.loc	1 49 51                         ; attention_fwd.py:49:51
	v_ashrrev_i32_e32 v29, 31, v28
	.loc	1 50 30                         ; attention_fwd.py:50:30
	s_wait_alu depctr_va_vcc(0)
	v_cndmask_b32_e32 v178, 0x7fff, v15, vcc_lo
	.loc	1 48 16                         ; attention_fwd.py:48:16
	s_mov_b32 vcc_lo, s1
	v_fma_f32 v15, -v19, v16, v22
	v_fma_f32 v19, -v20, v23, v21
	v_fma_f32 v22, -v18, v24, 1.0
	.loc	1 50 30                         ; attention_fwd.py:50:30
	v_add3_u32 v14, v13, v25, 0x7fff
	.loc	1 49 69                         ; attention_fwd.py:49:69
	v_mul_lo_u32 v36, s5, v127
	.loc	1 48 16                         ; attention_fwd.py:48:16
	s_wait_alu depctr_sa_sdst(0)
	v_div_fmas_f32 v15, v15, v26, v16
	v_dual_fmac_f32 v23, v19, v17 :: v_dual_fmac_f32 v24, v22, v24
	v_div_scale_f32 v16, null, v131, v131, v9
	v_div_scale_f32 v19, s1, v10, v131, v10
	s_delay_alu instid0(VALU_DEP_4) | instskip(NEXT) | instid1(VALU_DEP_3)
	v_div_fixup_f32 v12, v15, v131, v12
	v_rcp_f32_e32 v15, v16
	v_fma_f32 v20, -v20, v23, v21
	s_delay_alu instid0(VALU_DEP_3)
	v_mul_f32_e32 v21, v19, v24
	s_mov_b32 vcc_lo, s0
	.loc	1 50 30                         ; attention_fwd.py:50:30
	v_bfe_u32 v22, v12, 16, 1
	v_lshrrev_b32_e32 v14, 16, v14
	.loc	1 48 16                         ; attention_fwd.py:48:16
	s_wait_alu depctr_sa_sdst(0)
	v_div_fmas_f32 v17, v20, v17, v23
	v_fma_f32 v20, -v18, v21, v19
	v_div_scale_f32 v23, null, v131, v131, v8
	v_fma_f32 v25, -v16, v15, 1.0
	s_delay_alu instid0(VALU_DEP_4) | instskip(NEXT) | instid1(VALU_DEP_4)
	v_div_fixup_f32 v11, v17, v131, v11
	v_fmac_f32_e32 v21, v20, v24
	s_delay_alu instid0(VALU_DEP_4)
	v_rcp_f32_e32 v17, v23
	.loc	1 50 30                         ; attention_fwd.py:50:30
	v_cmp_o_f32_e32 vcc_lo, v13, v13
	v_add3_u32 v22, v12, v22, 0x7fff
	.loc	1 48 16                         ; attention_fwd.py:48:16
	v_fmac_f32_e32 v15, v25, v15
	v_div_scale_f32 v20, s0, v9, v131, v9
	v_fma_f32 v18, -v18, v21, v19
	v_div_scale_f32 v25, null, v131, v131, v7
	.loc	1 50 30                         ; attention_fwd.py:50:30
	s_wait_alu depctr_va_vcc(0)
	v_cndmask_b32_e32 v179, 0x7fff, v14, vcc_lo
	.loc	1 48 16                         ; attention_fwd.py:48:16
	s_mov_b32 vcc_lo, s1
	.loc	1 50 30                         ; attention_fwd.py:50:30
	v_lshrrev_b32_e32 v13, 16, v22
	.loc	1 48 16                         ; attention_fwd.py:48:16
	v_mul_f32_e32 v19, v20, v15
	v_fma_f32 v22, -v23, v17, 1.0
	s_wait_alu depctr_sa_sdst(0)
	v_div_fmas_f32 v18, v18, v24, v21
	v_rcp_f32_e32 v24, v25
	.loc	1 50 30                         ; attention_fwd.py:50:30
	v_bfe_u32 v14, v11, 16, 1
	.loc	1 48 16                         ; attention_fwd.py:48:16
	v_fma_f32 v21, -v16, v19, v20
	v_fmac_f32_e32 v17, v22, v17
	v_div_scale_f32 v22, s1, v8, v131, v8
	.loc	1 50 30                         ; attention_fwd.py:50:30
	v_cmp_o_f32_e32 vcc_lo, v12, v12
	v_add3_u32 v12, v11, v14, 0x7fff
	.loc	1 48 16                         ; attention_fwd.py:48:16
	v_fmac_f32_e32 v19, v21, v15
	v_div_fixup_f32 v10, v18, v131, v10
	s_delay_alu instid0(TRANS32_DEP_1)
	v_fma_f32 v14, -v25, v24, 1.0
	.loc	1 50 30                         ; attention_fwd.py:50:30
	s_wait_alu depctr_va_vcc(0)
	v_cndmask_b32_e32 v180, 0x7fff, v13, vcc_lo
	.loc	1 48 16                         ; attention_fwd.py:48:16
	v_mul_f32_e32 v13, v22, v17
	v_fma_f32 v16, -v16, v19, v20
	s_mov_b32 vcc_lo, s0
	v_fmac_f32_e32 v24, v14, v24
	v_div_scale_f32 v14, s2, v7, v131, v7
	v_fma_f32 v20, -v23, v13, v22
	.loc	1 50 30                         ; attention_fwd.py:50:30
	v_lshrrev_b32_e32 v12, 16, v12
	.loc	1 48 16                         ; attention_fwd.py:48:16
	s_wait_alu depctr_sa_sdst(0)
	v_div_fmas_f32 v15, v16, v15, v19
	v_mul_f32_e32 v16, v14, v24
	.loc	1 50 30                         ; attention_fwd.py:50:30
	v_cmp_o_f32_e32 vcc_lo, v11, v11
	.loc	1 48 16                         ; attention_fwd.py:48:16
	v_fmac_f32_e32 v13, v20, v17
	.loc	1 50 30                         ; attention_fwd.py:50:30
	v_bfe_u32 v18, v10, 16, 1
	.loc	1 48 16                         ; attention_fwd.py:48:16
	v_div_fixup_f32 v9, v15, v131, v9
	v_fma_f32 v15, -v25, v16, v14
	.loc	1 50 30                         ; attention_fwd.py:50:30
	s_wait_alu depctr_va_vcc(0)
	v_cndmask_b32_e32 v181, 0x7fff, v12, vcc_lo
	.loc	1 48 16                         ; attention_fwd.py:48:16
	v_fma_f32 v12, -v23, v13, v22
	s_mov_b32 vcc_lo, s1
	.loc	1 50 30                         ; attention_fwd.py:50:30
	v_add3_u32 v11, v10, v18, 0x7fff
	.loc	1 48 16                         ; attention_fwd.py:48:16
	v_fmac_f32_e32 v16, v15, v24
	v_div_scale_f32 v15, null, v131, v131, v6
	s_wait_alu depctr_sa_sdst(0)
	v_div_fmas_f32 v12, v12, v17, v13
	.loc	1 50 30                         ; attention_fwd.py:50:30
	v_bfe_u32 v13, v9, 16, 1
	.loc	1 48 16                         ; attention_fwd.py:48:16
	s_mov_b32 vcc_lo, s2
	.loc	1 50 30                         ; attention_fwd.py:50:30
	v_lshrrev_b32_e32 v11, 16, v11
	.loc	1 48 16                         ; attention_fwd.py:48:16
	v_div_scale_f32 v18, null, v131, v131, v3
	v_div_fixup_f32 v8, v12, v131, v8
	.loc	1 50 30                         ; attention_fwd.py:50:30
	v_add3_u32 v12, v9, v13, 0x7fff
	.loc	1 48 16                         ; attention_fwd.py:48:16
	v_fma_f32 v13, -v25, v16, v14
	v_rcp_f32_e32 v14, v15
	v_rcp_f32_e32 v20, v18
	.loc	1 50 30                         ; attention_fwd.py:50:30
	v_bfe_u32 v17, v8, 16, 1
	v_cmp_o_f32_e64 s0, v8, v8
	.loc	1 48 16                         ; attention_fwd.py:48:16
	s_wait_alu depctr_sa_sdst(0)
	v_div_fmas_f32 v13, v13, v24, v16
	.loc	1 50 30                         ; attention_fwd.py:50:30
	v_cmp_o_f32_e32 vcc_lo, v10, v10
	v_lshrrev_b32_e32 v10, 16, v12
	.loc	1 48 16                         ; attention_fwd.py:48:16
	v_div_scale_f32 v16, null, v131, v131, v4
	s_delay_alu instid0(VALU_DEP_4)
	v_div_fixup_f32 v7, v13, v131, v7
	.loc	1 50 30                         ; attention_fwd.py:50:30
	s_wait_alu depctr_va_vcc(0)
	v_cndmask_b32_e32 v182, 0x7fff, v11, vcc_lo
	.loc	1 48 16                         ; attention_fwd.py:48:16
	v_fma_f32 v12, -v15, v14, 1.0
	.loc	1 50 30                         ; attention_fwd.py:50:30
	v_cmp_o_f32_e32 vcc_lo, v9, v9
	v_add3_u32 v11, v8, v17, 0x7fff
	.loc	1 48 16                         ; attention_fwd.py:48:16
	v_div_scale_f32 v13, null, v131, v131, v5
	s_delay_alu instid0(VALU_DEP_4)
	v_fmac_f32_e32 v14, v12, v14
	.loc	1 50 30                         ; attention_fwd.py:50:30
	s_wait_alu depctr_va_vcc(0)
	v_cndmask_b32_e32 v183, 0x7fff, v10, vcc_lo
	.loc	1 48 16                         ; attention_fwd.py:48:16
	v_div_scale_f32 v12, vcc_lo, v6, v131, v6
	.loc	1 50 30                         ; attention_fwd.py:50:30
	v_lshrrev_b32_e32 v9, 16, v11
	.loc	1 48 16                         ; attention_fwd.py:48:16
	v_rcp_f32_e32 v11, v13
	.loc	1 50 30                         ; attention_fwd.py:50:30
	v_bfe_u32 v10, v7, 16, 1
	s_delay_alu instid0(VALU_DEP_3)
	.loc	1 48 16                         ; attention_fwd.py:48:16
	v_mul_f32_e32 v8, v12, v14
	v_fma_f32 v24, -v18, v20, 1.0
	.loc	1 50 30                         ; attention_fwd.py:50:30
	s_wait_alu depctr_va_sdst(0)
	v_cndmask_b32_e64 v184, 0x7fff, v9, s0
	.loc	1 48 16                         ; attention_fwd.py:48:16
	v_rcp_f32_e32 v9, v16
	.loc	1 50 30                         ; attention_fwd.py:50:30
	v_add3_u32 v10, v7, v10, 0x7fff
	.loc	1 48 16                         ; attention_fwd.py:48:16
	v_fma_f32 v19, -v15, v8, v12
	.loc	1 50 30                         ; attention_fwd.py:50:30
	v_cmp_o_f32_e64 s2, v7, v7
	.loc	1 48 16                         ; attention_fwd.py:48:16
	v_fmac_f32_e32 v20, v24, v20
	v_fma_f32 v17, -v13, v11, 1.0
	.loc	1 50 30                         ; attention_fwd.py:50:30
	v_lshrrev_b32_e32 v10, 16, v10
	.loc	1 48 16                         ; attention_fwd.py:48:16
	v_fmac_f32_e32 v8, v19, v14
	v_div_scale_f32 v19, null, v131, v131, v2
	s_delay_alu instid0(VALU_DEP_4) | instskip(SKIP_2) | instid1(VALU_DEP_4)
	v_fmac_f32_e32 v11, v17, v11
	v_div_scale_f32 v17, s0, v5, v131, v5
	v_fma_f32 v21, -v16, v9, 1.0
	v_rcp_f32_e32 v23, v19
	.loc	1 50 30                         ; attention_fwd.py:50:30
	s_wait_alu depctr_va_sdst(0)
	v_cndmask_b32_e64 v185, 0x7fff, v10, s2
	.loc	1 48 16                         ; attention_fwd.py:48:16
	v_mul_f32_e32 v22, v17, v11
	v_fma_f32 v7, -v15, v8, v12
	v_fmac_f32_e32 v9, v21, v9
	v_div_scale_f32 v21, s1, v4, v131, v4
	s_delay_alu instid0(VALU_DEP_4) | instskip(SKIP_1) | instid1(VALU_DEP_3)
	v_fma_f32 v10, -v13, v22, v17
	v_div_scale_f32 v15, s2, v3, v131, v3
	v_mul_f32_e32 v12, v21, v9
	v_fma_f32 v24, -v19, v23, 1.0
	s_wait_alu depctr_va_vcc(0)
	v_div_fmas_f32 v7, v7, v14, v8
	v_fmac_f32_e32 v22, v10, v11
	v_div_scale_f32 v14, s3, v2, v131, v2
	v_fma_f32 v8, -v16, v12, v21
	v_dual_fmac_f32 v23, v24, v23 :: v_dual_mul_f32 v10, v15, v20
	v_div_fixup_f32 v6, v7, v131, v6
	v_fma_f32 v7, -v13, v22, v17
	s_delay_alu instid0(VALU_DEP_3) | instskip(NEXT) | instid1(VALU_DEP_4)
	v_dual_fmac_f32 v12, v8, v9 :: v_dual_mul_f32 v13, v14, v23
	v_fma_f32 v8, -v18, v10, v15
	s_mov_b32 vcc_lo, s0
	.loc	1 49 69                         ; attention_fwd.py:49:69
	v_mul_lo_u32 v24, s5, v138
	.loc	1 48 16                         ; attention_fwd.py:48:16
	s_wait_alu depctr_sa_sdst(0)
	v_div_fmas_f32 v7, v7, v11, v22
	v_fma_f32 v11, -v16, v12, v21
	v_fma_f32 v16, -v19, v13, v14
	v_fmac_f32_e32 v10, v8, v20
	s_mov_b32 vcc_lo, s1
	v_div_fixup_f32 v5, v7, v131, v5
	s_wait_alu depctr_sa_sdst(0)
	v_div_fmas_f32 v8, v11, v9, v12
	v_fmac_f32_e32 v13, v16, v23
	v_fma_f32 v7, -v18, v10, v15
	.loc	1 50 30                         ; attention_fwd.py:50:30
	v_bfe_u32 v9, v6, 16, 1
	.loc	1 48 16                         ; attention_fwd.py:48:16
	s_mov_b32 vcc_lo, s2
	v_div_fixup_f32 v8, v8, v131, v4
	v_fma_f32 v4, -v19, v13, v14
	s_wait_alu depctr_sa_sdst(0)
	v_div_fmas_f32 v7, v7, v20, v10
	s_mov_b32 vcc_lo, s3
	.loc	1 50 30                         ; attention_fwd.py:50:30
	v_add3_u32 v9, v6, v9, 0x7fff
	v_bfe_u32 v10, v5, 16, 1
	.loc	1 48 16                         ; attention_fwd.py:48:16
	s_wait_alu depctr_sa_sdst(0)
	v_div_fmas_f32 v4, v4, v23, v13
	.loc	1 50 30                         ; attention_fwd.py:50:30
	v_bfe_u32 v11, v8, 16, 1
	.loc	1 48 16                         ; attention_fwd.py:48:16
	v_div_fixup_f32 v7, v7, v131, v3
	.loc	1 50 30                         ; attention_fwd.py:50:30
	v_cmp_o_f32_e32 vcc_lo, v6, v6
	v_add3_u32 v3, v5, v10, 0x7fff
	.loc	1 48 16                         ; attention_fwd.py:48:16
	v_div_fixup_f32 v12, v4, v131, v2
	.loc	1 50 30                         ; attention_fwd.py:50:30
	v_lshrrev_b32_e32 v2, 16, v9
	v_add3_u32 v4, v8, v11, 0x7fff
	v_bfe_u32 v9, v7, 16, 1
	v_lshrrev_b32_e32 v3, 16, v3
	v_bfe_u32 v10, v12, 16, 1
	s_wait_alu depctr_va_vcc(0)
	v_cndmask_b32_e32 v186, 0x7fff, v2, vcc_lo
	v_cmp_o_f32_e32 vcc_lo, v5, v5
	v_lshrrev_b32_e32 v6, 16, v4
	v_add3_u32 v9, v7, v9, 0x7fff
	.loc	1 49 69                         ; attention_fwd.py:49:69
	v_mul_lo_u32 v4, s5, v155
	v_mul_lo_u32 v2, s5, v157
	.loc	1 50 30                         ; attention_fwd.py:50:30
	s_wait_alu depctr_va_vcc(0)
	v_cndmask_b32_e32 v155, 0x7fff, v3, vcc_lo
	v_cmp_o_f32_e32 vcc_lo, v8, v8
	v_lshrrev_b32_e32 v8, 16, v9
	v_add3_u32 v10, v12, v10, 0x7fff
	.loc	1 49 69                         ; attention_fwd.py:49:69
	v_mul_lo_u32 v14, s5, v147
	v_mul_lo_u32 v16, s5, v145
	.loc	1 50 30                         ; attention_fwd.py:50:30
	s_wait_alu depctr_va_vcc(0)
	v_cndmask_b32_e32 v157, 0x7fff, v6, vcc_lo
	v_cmp_o_f32_e32 vcc_lo, v7, v7
	.loc	1 49 69                         ; attention_fwd.py:49:69
	v_mul_lo_u32 v6, s5, v153
	.loc	1 50 30                         ; attention_fwd.py:50:30
	v_lshrrev_b32_e32 v9, 16, v10
	.loc	1 49 51                         ; attention_fwd.py:49:51
	v_ashrrev_i32_e32 v3, 31, v2
	.loc	1 49 69 is_stmt 0               ; attention_fwd.py:49:69
	v_mul_lo_u32 v10, s5, v149
	.loc	1 50 30 is_stmt 1               ; attention_fwd.py:50:30
	s_wait_alu depctr_va_vcc(0)
	v_cndmask_b32_e32 v153, 0x7fff, v8, vcc_lo
	.loc	1 49 69                         ; attention_fwd.py:49:69
	v_mul_lo_u32 v8, s5, v152
	.loc	1 50 30                         ; attention_fwd.py:50:30
	v_cmp_o_f32_e32 vcc_lo, v12, v12
	.loc	1 49 51                         ; attention_fwd.py:49:51
	v_ashrrev_i32_e32 v5, 31, v4
	.loc	1 49 69 is_stmt 0               ; attention_fwd.py:49:69
	v_mul_lo_u32 v12, s5, v148
	.loc	1 49 51                         ; attention_fwd.py:49:51
	v_ashrrev_i32_e32 v7, 31, v6
	v_lshlrev_b64_e32 v[2:3], 1, v[2:3]
	.loc	1 50 30 is_stmt 1               ; attention_fwd.py:50:30
	s_wait_alu depctr_va_vcc(0)
	v_cndmask_b32_e32 v187, 0x7fff, v9, vcc_lo
	.loc	1 49 51                         ; attention_fwd.py:49:51
	v_lshlrev_b64_e32 v[4:5], 1, v[4:5]
	v_ashrrev_i32_e32 v9, 31, v8
	v_ashrrev_i32_e32 v11, 31, v10
	.loc	1 49 69 is_stmt 0               ; attention_fwd.py:49:69
	v_mul_lo_u32 v18, s5, v142
	.loc	1 49 51                         ; attention_fwd.py:49:51
	v_lshlrev_b64_e32 v[6:7], 1, v[6:7]
	v_ashrrev_i32_e32 v13, 31, v12
	.loc	1 49 69                         ; attention_fwd.py:49:69
	v_mul_lo_u32 v20, s5, v141
	.loc	1 49 51                         ; attention_fwd.py:49:51
	v_add_co_u32 v2, vcc_lo, v64, v2
	v_lshlrev_b64_e32 v[8:9], 1, v[8:9]
	v_ashrrev_i32_e32 v15, 31, v14
	.loc	1 49 69                         ; attention_fwd.py:49:69
	v_mul_lo_u32 v22, s5, v140
	.loc	1 49 51                         ; attention_fwd.py:49:51
	s_wait_alu depctr_va_vcc(0)
	v_add_co_ci_u32_e64 v3, null, v65, v3, vcc_lo
	v_add_co_u32 v4, vcc_lo, v64, v4
	v_lshlrev_b64_e32 v[10:11], 1, v[10:11]
	v_ashrrev_i32_e32 v17, 31, v16
	s_wait_alu depctr_va_vcc(0)
	v_add_co_ci_u32_e64 v5, null, v65, v5, vcc_lo
	v_add_co_u32 v6, vcc_lo, v64, v6
	v_lshlrev_b64_e32 v[12:13], 1, v[12:13]
	v_ashrrev_i32_e32 v19, 31, v18
	.loc	1 49 69                         ; attention_fwd.py:49:69
	v_mul_lo_u32 v26, s5, v137
	.loc	1 49 51                         ; attention_fwd.py:49:51
	s_wait_alu depctr_va_vcc(0)
	v_add_co_ci_u32_e64 v7, null, v65, v7, vcc_lo
	v_add_co_u32 v8, vcc_lo, v64, v8
	v_lshlrev_b64_e32 v[14:15], 1, v[14:15]
	v_ashrrev_i32_e32 v21, 31, v20
	s_wait_alu depctr_va_vcc(0)
	v_add_co_ci_u32_e64 v9, null, v65, v9, vcc_lo
	v_add_co_u32 v10, vcc_lo, v64, v10
	v_lshlrev_b64_e32 v[16:17], 1, v[16:17]
	v_ashrrev_i32_e32 v23, 31, v22
	;; [unrolled: 5-line block ×4, first 2 shown]
	s_wait_alu depctr_va_vcc(0)
	v_add_co_ci_u32_e64 v15, null, v65, v15, vcc_lo
	v_add_co_u32 v16, vcc_lo, v64, v16
	v_lshlrev_b64_e32 v[22:23], 1, v[22:23]
	s_wait_alu depctr_va_vcc(0)
	v_add_co_ci_u32_e64 v17, null, v65, v17, vcc_lo
	v_add_co_u32 v18, vcc_lo, v64, v18
	v_lshlrev_b64_e32 v[24:25], 1, v[24:25]
	v_ashrrev_i32_e32 v31, 31, v30
	s_wait_alu depctr_va_vcc(0)
	v_add_co_ci_u32_e64 v19, null, v65, v19, vcc_lo
	v_add_co_u32 v20, vcc_lo, v64, v20
	v_lshlrev_b64_e32 v[26:27], 1, v[26:27]
	v_ashrrev_i32_e32 v33, 31, v32
	;; [unrolled: 5-line block ×5, first 2 shown]
	s_wait_alu depctr_va_vcc(0)
	v_add_co_ci_u32_e64 v27, null, v65, v27, vcc_lo
	v_add_co_u32 v28, vcc_lo, v64, v28
	v_lshlrev_b64_e32 v[34:35], 1, v[34:35]
	s_wait_alu depctr_va_vcc(0)
	v_add_co_ci_u32_e64 v29, null, v65, v29, vcc_lo
	v_add_co_u32 v30, vcc_lo, v64, v30
	v_lshlrev_b64_e32 v[36:37], 1, v[36:37]
	;; [unrolled: 4-line block ×3, first 2 shown]
	s_wait_alu depctr_va_vcc(0)
	v_add_co_ci_u32_e64 v33, null, v65, v33, vcc_lo
	v_add_co_u32 v34, vcc_lo, v64, v34
	s_wait_alu depctr_va_vcc(0)
	v_add_co_ci_u32_e64 v35, null, v65, v35, vcc_lo
	v_add_co_u32 v36, vcc_lo, v64, v36
	;; [unrolled: 3-line block ×3, first 2 shown]
	v_lshlrev_b64_e32 v[44:45], 1, v[44:45]
	s_wait_alu depctr_va_vcc(0)
	v_add_co_ci_u32_e64 v39, null, v65, v39, vcc_lo
	v_add_co_u32 v40, vcc_lo, v64, v40
	s_wait_alu depctr_va_vcc(0)
	v_add_co_ci_u32_e64 v41, null, v65, v41, vcc_lo
	v_add_co_u32 v42, vcc_lo, v64, v42
	;; [unrolled: 3-line block ×5, first 2 shown]
	.loc	1 49 69                         ; attention_fwd.py:49:69
	v_mul_lo_u32 v93, s5, v125
	.loc	1 49 51                         ; attention_fwd.py:49:51
	s_wait_alu depctr_va_vcc(0)
	v_add_co_ci_u32_e64 v49, null, v65, v49, vcc_lo
	v_add_co_u32 v50, vcc_lo, v64, v50
	s_wait_alu depctr_va_vcc(0)
	v_add_co_ci_u32_e64 v51, null, v65, v51, vcc_lo
	v_add_co_u32 v52, vcc_lo, v64, v52
	;; [unrolled: 3-line block ×3, first 2 shown]
	v_ashrrev_i32_e32 v91, 31, v90
	s_wait_alu depctr_va_vcc(0)
	v_add_co_ci_u32_e64 v55, null, v65, v55, vcc_lo
	v_add_co_u32 v56, vcc_lo, v64, v56
	v_lshlrev_b64_e32 v[84:85], 1, v[84:85]
	v_ashrrev_i32_e32 v94, 31, v93
	v_ashrrev_i32_e32 v125, 31, v124
	s_wait_alu depctr_va_vcc(0)
	v_add_co_ci_u32_e64 v57, null, v65, v57, vcc_lo
	v_add_co_u32 v58, vcc_lo, v64, v58
	v_lshlrev_b64_e32 v[75:76], 1, v[75:76]
	s_wait_alu depctr_va_vcc(0)
	v_add_co_ci_u32_e64 v59, null, v65, v59, vcc_lo
	v_add_co_u32 v60, vcc_lo, v64, v60
	v_lshlrev_b64_e32 v[90:91], 1, v[90:91]
	;; [unrolled: 4-line block ×3, first 2 shown]
	v_lshlrev_b64_e32 v[125:126], 1, v[124:125]
	v_ashrrev_i32_e32 v124, 31, v123
	s_wait_alu depctr_va_vcc(0)
	v_add_co_ci_u32_e64 v85, null, v65, v85, vcc_lo
	v_add_co_u32 v75, vcc_lo, v64, v75
	s_wait_alu depctr_va_vcc(0)
	v_add_co_ci_u32_e64 v76, null, v65, v76, vcc_lo
	v_add_co_u32 v90, vcc_lo, v64, v90
	v_lshlrev_b64_e32 v[135:136], 1, v[123:124]
	v_ashrrev_i32_e32 v123, 31, v122
	s_wait_alu depctr_va_vcc(0)
	v_add_co_ci_u32_e64 v91, null, v65, v91, vcc_lo
	v_add_co_u32 v93, vcc_lo, v64, v93
	s_wait_alu depctr_va_vcc(0)
	v_add_co_ci_u32_e64 v94, null, v65, v94, vcc_lo
	v_add_co_u32 v124, vcc_lo, v64, v125
	s_wait_alu depctr_va_vcc(0)
	v_add_co_ci_u32_e64 v125, null, v65, v126, vcc_lo
	v_lshlrev_b64_e32 v[126:127], 1, v[122:123]
	v_ashrrev_i32_e32 v122, 31, v121
	v_add_co_u32 v135, vcc_lo, v64, v135
	s_wait_alu depctr_va_vcc(0)
	v_add_co_ci_u32_e64 v136, null, v65, v136, vcc_lo
	s_delay_alu instid0(VALU_DEP_3) | instskip(SKIP_4) | instid1(VALU_DEP_3)
	v_lshlrev_b64_e32 v[122:123], 1, v[121:122]
	v_ashrrev_i32_e32 v121, 31, v120
	v_add_co_u32 v126, vcc_lo, v64, v126
	s_wait_alu depctr_va_vcc(0)
	v_add_co_ci_u32_e64 v127, null, v65, v127, vcc_lo
	v_lshlrev_b64_e32 v[137:138], 1, v[120:121]
	v_ashrrev_i32_e32 v120, 31, v119
	v_add_co_u32 v121, vcc_lo, v64, v122
	s_wait_alu depctr_va_vcc(0)
	v_add_co_ci_u32_e64 v122, null, v65, v123, vcc_lo
	s_delay_alu instid0(VALU_DEP_3) | instskip(SKIP_4) | instid1(VALU_DEP_3)
	v_lshlrev_b64_e32 v[140:141], 1, v[119:120]
	v_ashrrev_i32_e32 v119, 31, v118
	;; [unrolled: 11-line block ×9, first 2 shown]
	v_add_co_u32 v107, vcc_lo, v64, v107
	s_wait_alu depctr_va_vcc(0)
	v_add_co_ci_u32_e64 v108, null, v65, v108, vcc_lo
	v_lshlrev_b64_e32 v[103:104], 1, v[104:105]
	v_lshlrev_b64_e32 v[105:106], 1, v[202:203]
	v_add_co_u32 v204, vcc_lo, v64, v204
	s_wait_alu depctr_va_vcc(0)
	v_add_co_ci_u32_e64 v205, null, v65, v205, vcc_lo
	s_delay_alu instid0(VALU_DEP_4)
	v_add_co_u32 v202, vcc_lo, v64, v103
	s_wait_alu depctr_va_vcc(0)
	v_add_co_ci_u32_e64 v203, null, v65, v104, vcc_lo
	v_add_co_u32 v104, vcc_lo, v64, v105
	s_wait_alu depctr_va_vcc(0)
	v_add_co_ci_u32_e64 v105, null, v65, v106, vcc_lo
	.loc	1 48 16 is_stmt 1               ; attention_fwd.py:48:16
	v_div_scale_f32 v88, vcc_lo, v0, v131, v0
	v_div_scale_f32 v95, s0, v1, v131, v1
	.loc	1 49 51                         ; attention_fwd.py:49:51
	v_ashrrev_i32_e32 v103, 31, v102
	s_delay_alu instid0(VALU_DEP_3) | instskip(SKIP_1) | instid1(VALU_DEP_4)
	.loc	1 48 16                         ; attention_fwd.py:48:16
	v_mul_f32_e32 v106, v88, v80
	.loc	1 49 51                         ; attention_fwd.py:49:51
	v_ashrrev_i32_e32 v129, 31, v128
	.loc	1 48 16                         ; attention_fwd.py:48:16
	v_mul_f32_e32 v111, v95, v86
	s_delay_alu instid0(VALU_DEP_4) | instskip(NEXT) | instid1(VALU_DEP_4)
	.loc	1 49 51                         ; attention_fwd.py:49:51
	v_lshlrev_b64_e32 v[206:207], 1, v[102:103]
	.loc	1 48 16                         ; attention_fwd.py:48:16
	v_fma_f32 v98, -v78, v106, v88
	.loc	1 49 51                         ; attention_fwd.py:49:51
	v_ashrrev_i32_e32 v102, 31, v101
	s_delay_alu instid0(VALU_DEP_4) | instskip(SKIP_1) | instid1(VALU_DEP_4)
	.loc	1 48 16                         ; attention_fwd.py:48:16
	v_fma_f32 v114, -v82, v111, v95
	.loc	1 49 51                         ; attention_fwd.py:49:51
	v_lshlrev_b64_e32 v[128:129], 1, v[128:129]
	.loc	1 48 16                         ; attention_fwd.py:48:16
	v_fmac_f32_e32 v106, v98, v80
	s_delay_alu instid0(VALU_DEP_4) | instskip(NEXT) | instid1(VALU_DEP_4)
	.loc	1 49 51                         ; attention_fwd.py:49:51
	v_lshlrev_b64_e32 v[102:103], 1, v[101:102]
	.loc	1 48 16                         ; attention_fwd.py:48:16
	v_fmac_f32_e32 v111, v114, v86
	.loc	1 49 51                         ; attention_fwd.py:49:51
	v_ashrrev_i32_e32 v101, 31, v100
	v_ashrrev_i32_e32 v98, 31, v97
	.loc	1 48 16                         ; attention_fwd.py:48:16
	v_fma_f32 v78, -v78, v106, v88
	.loc	1 49 51                         ; attention_fwd.py:49:51
	v_add_co_u32 v206, s1, v64, v206
	.loc	1 48 16                         ; attention_fwd.py:48:16
	v_fma_f32 v82, -v82, v111, v95
	.loc	1 49 51                         ; attention_fwd.py:49:51
	v_lshlrev_b64_e32 v[210:211], 1, v[100:101]
	.loc	1 48 16                         ; attention_fwd.py:48:16
	s_wait_alu depctr_va_vcc(0)
	v_div_fmas_f32 v78, v78, v80, v106
	s_mov_b32 vcc_lo, s0
	.loc	1 49 51                         ; attention_fwd.py:49:51
	v_ashrrev_i32_e32 v100, 31, v99
	.loc	1 48 16                         ; attention_fwd.py:48:16
	s_wait_alu depctr_sa_sdst(0)
	v_div_fmas_f32 v80, v82, v86, v111
	.loc	1 49 69                         ; attention_fwd.py:49:69
	v_mul_lo_u32 v95, s5, v96
	.loc	1 48 16                         ; attention_fwd.py:48:16
	v_div_fixup_f32 v78, v78, v131, v0
	.loc	1 49 51                         ; attention_fwd.py:49:51
	v_lshlrev_b64_e32 v[97:98], 1, v[97:98]
	v_add_co_u32 v210, vcc_lo, v64, v210
	.loc	1 48 16                         ; attention_fwd.py:48:16
	v_div_fixup_f32 v80, v80, v131, v1
	.loc	1 49 51                         ; attention_fwd.py:49:51
	v_lshlrev_b64_e32 v[0:1], 1, v[99:100]
	v_lshlrev_b64_e32 v[99:100], 1, v[208:209]
	.loc	1 50 30                         ; attention_fwd.py:50:30
	v_bfe_u32 v82, v78, 16, 1
	.loc	1 49 51                         ; attention_fwd.py:49:51
	s_wait_alu depctr_va_vcc(0)
	v_add_co_ci_u32_e64 v211, null, v65, v211, vcc_lo
	.loc	1 50 30                         ; attention_fwd.py:50:30
	v_bfe_u32 v86, v80, 16, 1
	.loc	1 49 51                         ; attention_fwd.py:49:51
	v_ashrrev_i32_e32 v96, 31, v95
	.loc	1 50 30                         ; attention_fwd.py:50:30
	v_add3_u32 v82, v78, v82, 0x7fff
	.loc	1 49 51                         ; attention_fwd.py:49:51
	v_add_co_u32 v99, vcc_lo, v64, v99
	s_wait_alu depctr_va_vcc(0)
	v_add_co_ci_u32_e64 v100, null, v65, v100, vcc_lo
	v_add_co_u32 v97, vcc_lo, v64, v97
	.loc	1 50 30                         ; attention_fwd.py:50:30
	v_add3_u32 v86, v80, v86, 0x7fff
	.loc	1 49 51                         ; attention_fwd.py:49:51
	s_wait_alu depctr_va_vcc(0)
	v_add_co_ci_u32_e64 v98, null, v65, v98, vcc_lo
	.loc	1 50 30                         ; attention_fwd.py:50:30
	v_lshrrev_b32_e32 v82, 16, v82
	v_cmp_o_f32_e32 vcc_lo, v78, v78
	.loc	1 49 51                         ; attention_fwd.py:49:51
	v_lshlrev_b64_e32 v[95:96], 1, v[95:96]
	.loc	1 50 30                         ; attention_fwd.py:50:30
	v_lshrrev_b32_e32 v86, 16, v86
	.loc	1 49 51                         ; attention_fwd.py:49:51
	v_add_co_ci_u32_e64 v207, null, v65, v207, s1
	.loc	1 50 30                         ; attention_fwd.py:50:30
	s_wait_alu depctr_va_vcc(0)
	v_cndmask_b32_e32 v78, 0x7fff, v82, vcc_lo
	v_cmp_o_f32_e32 vcc_lo, v80, v80
	.loc	1 49 51                         ; attention_fwd.py:49:51
	v_add_co_u32 v102, s1, v64, v102
	s_wait_alu depctr_va_sdst(0)
	v_add_co_ci_u32_e64 v103, null, v65, v103, s1
	.loc	1 50 30                         ; attention_fwd.py:50:30
	s_wait_alu depctr_va_vcc(0)
	v_cndmask_b32_e32 v80, 0x7fff, v86, vcc_lo
	.loc	1 49 51                         ; attention_fwd.py:49:51
	v_add_co_u32 v95, vcc_lo, v64, v95
	s_wait_alu depctr_va_vcc(0)
	v_add_co_ci_u32_e64 v96, null, v65, v96, vcc_lo
	v_add_co_u32 v128, vcc_lo, v64, v128
	s_wait_alu depctr_va_vcc(0)
	v_add_co_ci_u32_e64 v129, null, v65, v129, vcc_lo
	;; [unrolled: 3-line block ×3, first 2 shown]
	.loc	1 50 23                         ; attention_fwd.py:50:23
	s_clause 0x1f
	global_store_b16 v[128:129], v78, off
	global_store_b16 v[95:96], v80, off
	;; [unrolled: 1-line block ×32, first 2 shown]
	s_clause 0x1f
	global_store_b16 v[75:76], v160, off
	global_store_b16 v[84:85], v159, off
	;; [unrolled: 1-line block ×32, first 2 shown]
.LBB0_395:                              ; %.critedge124
	.loc	1 50 4                          ; attention_fwd.py:50:4
	s_nop 0
	s_sendmsg sendmsg(MSG_DEALLOC_VGPRS)
	s_endpgm
.Ltmp107:
	.section	.rodata,"a",@progbits
	.p2align	6, 0x0
	.amdhsa_kernel attention_fwd_kernel
		.amdhsa_group_segment_fixed_size 0
		.amdhsa_private_segment_fixed_size 0
		.amdhsa_kernarg_size 88
		.amdhsa_user_sgpr_count 2
		.amdhsa_user_sgpr_dispatch_ptr 0
		.amdhsa_user_sgpr_queue_ptr 0
		.amdhsa_user_sgpr_kernarg_segment_ptr 1
		.amdhsa_user_sgpr_dispatch_id 0
		.amdhsa_user_sgpr_private_segment_size 0
		.amdhsa_wavefront_size32 1
		.amdhsa_uses_dynamic_stack 0
		.amdhsa_enable_private_segment 0
		.amdhsa_system_sgpr_workgroup_id_x 1
		.amdhsa_system_sgpr_workgroup_id_y 1
		.amdhsa_system_sgpr_workgroup_id_z 1
		.amdhsa_system_sgpr_workgroup_info 0
		.amdhsa_system_vgpr_workitem_id 0
		.amdhsa_next_free_vgpr 252
		.amdhsa_next_free_sgpr 105
		.amdhsa_reserve_vcc 1
		.amdhsa_float_round_mode_32 0
		.amdhsa_float_round_mode_16_64 0
		.amdhsa_float_denorm_mode_32 3
		.amdhsa_float_denorm_mode_16_64 3
		.amdhsa_fp16_overflow 0
		.amdhsa_workgroup_processor_mode 1
		.amdhsa_memory_ordered 1
		.amdhsa_forward_progress 1
		.amdhsa_inst_pref_size 255
		.amdhsa_round_robin_scheduling 0
		.amdhsa_exception_fp_ieee_invalid_op 0
		.amdhsa_exception_fp_denorm_src 0
		.amdhsa_exception_fp_ieee_div_zero 0
		.amdhsa_exception_fp_ieee_overflow 0
		.amdhsa_exception_fp_ieee_underflow 0
		.amdhsa_exception_fp_ieee_inexact 0
		.amdhsa_exception_int_div_zero 0
	.end_amdhsa_kernel
	.text
.Lfunc_end0:
	.size	attention_fwd_kernel, .Lfunc_end0-attention_fwd_kernel
	.cfi_endproc
                                        ; -- End function
	.set attention_fwd_kernel.num_vgpr, 252
	.set attention_fwd_kernel.num_agpr, 0
	.set attention_fwd_kernel.numbered_sgpr, 105
	.set attention_fwd_kernel.num_named_barrier, 0
	.set attention_fwd_kernel.private_seg_size, 0
	.set attention_fwd_kernel.uses_vcc, 1
	.set attention_fwd_kernel.uses_flat_scratch, 0
	.set attention_fwd_kernel.has_dyn_sized_stack, 0
	.set attention_fwd_kernel.has_recursion, 0
	.set attention_fwd_kernel.has_indirect_call, 0
	.section	.AMDGPU.csdata,"",@progbits
; Kernel info:
; codeLenInByte = 52272
; TotalNumSgprs: 107
; NumVgprs: 252
; ScratchSize: 0
; MemoryBound: 0
; FloatMode: 240
; IeeeMode: 1
; LDSByteSize: 0 bytes/workgroup (compile time only)
; SGPRBlocks: 0
; VGPRBlocks: 31
; NumSGPRsForWavesPerEU: 107
; NumVGPRsForWavesPerEU: 252
; Occupancy: 5
; WaveLimiterHint : 0
; COMPUTE_PGM_RSRC2:SCRATCH_EN: 0
; COMPUTE_PGM_RSRC2:USER_SGPR: 2
; COMPUTE_PGM_RSRC2:TRAP_HANDLER: 0
; COMPUTE_PGM_RSRC2:TGID_X_EN: 1
; COMPUTE_PGM_RSRC2:TGID_Y_EN: 1
; COMPUTE_PGM_RSRC2:TGID_Z_EN: 1
; COMPUTE_PGM_RSRC2:TIDIG_COMP_CNT: 0
	.text
	.p2alignl 7, 3214868480
	.fill 96, 4, 3214868480
	.section	.AMDGPU.gpr_maximums,"",@progbits
	.set amdgpu.max_num_vgpr, 0
	.set amdgpu.max_num_agpr, 0
	.set amdgpu.max_num_sgpr, 0
	.set amdgpu.max_num_named_barrier, 0
	.text
	.section	.debug_abbrev,"",@progbits
	.byte	1                               ; Abbreviation Code
	.byte	17                              ; DW_TAG_compile_unit
	.byte	1                               ; DW_CHILDREN_yes
	.byte	37                              ; DW_AT_producer
	.byte	14                              ; DW_FORM_strp
	.byte	19                              ; DW_AT_language
	.byte	5                               ; DW_FORM_data2
	.byte	3                               ; DW_AT_name
	.byte	14                              ; DW_FORM_strp
	.byte	16                              ; DW_AT_stmt_list
	.byte	23                              ; DW_FORM_sec_offset
	.byte	27                              ; DW_AT_comp_dir
	.byte	14                              ; DW_FORM_strp
	.byte	17                              ; DW_AT_low_pc
	.byte	1                               ; DW_FORM_addr
	.byte	18                              ; DW_AT_high_pc
	.byte	6                               ; DW_FORM_data4
	.byte	0                               ; EOM(1)
	.byte	0                               ; EOM(2)
	.byte	2                               ; Abbreviation Code
	.byte	46                              ; DW_TAG_subprogram
	.byte	0                               ; DW_CHILDREN_no
	.byte	3                               ; DW_AT_name
	.byte	14                              ; DW_FORM_strp
	.byte	32                              ; DW_AT_inline
	.byte	11                              ; DW_FORM_data1
	.byte	0                               ; EOM(1)
	.byte	0                               ; EOM(2)
	.byte	3                               ; Abbreviation Code
	.byte	46                              ; DW_TAG_subprogram
	.byte	1                               ; DW_CHILDREN_yes
	.byte	17                              ; DW_AT_low_pc
	.byte	1                               ; DW_FORM_addr
	.byte	18                              ; DW_AT_high_pc
	.byte	6                               ; DW_FORM_data4
	.byte	49                              ; DW_AT_abstract_origin
	.byte	19                              ; DW_FORM_ref4
	.byte	0                               ; EOM(1)
	.byte	0                               ; EOM(2)
	.byte	4                               ; Abbreviation Code
	.byte	29                              ; DW_TAG_inlined_subroutine
	.byte	1                               ; DW_CHILDREN_yes
	.byte	49                              ; DW_AT_abstract_origin
	.byte	19                              ; DW_FORM_ref4
	.byte	85                              ; DW_AT_ranges
	.byte	23                              ; DW_FORM_sec_offset
	.byte	88                              ; DW_AT_call_file
	.byte	11                              ; DW_FORM_data1
	.byte	89                              ; DW_AT_call_line
	.byte	11                              ; DW_FORM_data1
	.byte	87                              ; DW_AT_call_column
	.byte	11                              ; DW_FORM_data1
	.byte	0                               ; EOM(1)
	.byte	0                               ; EOM(2)
	.byte	5                               ; Abbreviation Code
	.byte	29                              ; DW_TAG_inlined_subroutine
	.byte	0                               ; DW_CHILDREN_no
	.byte	49                              ; DW_AT_abstract_origin
	.byte	19                              ; DW_FORM_ref4
	.byte	85                              ; DW_AT_ranges
	.byte	23                              ; DW_FORM_sec_offset
	.byte	88                              ; DW_AT_call_file
	.byte	11                              ; DW_FORM_data1
	.byte	89                              ; DW_AT_call_line
	.byte	5                               ; DW_FORM_data2
	.byte	87                              ; DW_AT_call_column
	.byte	11                              ; DW_FORM_data1
	.byte	0                               ; EOM(1)
	.byte	0                               ; EOM(2)
	.byte	6                               ; Abbreviation Code
	.byte	29                              ; DW_TAG_inlined_subroutine
	.byte	0                               ; DW_CHILDREN_no
	.byte	49                              ; DW_AT_abstract_origin
	.byte	19                              ; DW_FORM_ref4
	.byte	85                              ; DW_AT_ranges
	.byte	23                              ; DW_FORM_sec_offset
	.byte	88                              ; DW_AT_call_file
	.byte	11                              ; DW_FORM_data1
	.byte	89                              ; DW_AT_call_line
	.byte	11                              ; DW_FORM_data1
	.byte	87                              ; DW_AT_call_column
	.byte	11                              ; DW_FORM_data1
	.byte	0                               ; EOM(1)
	.byte	0                               ; EOM(2)
	;; [unrolled: 1-line block ×3, first 2 shown]
	.section	.debug_info,"",@progbits
.Lcu_begin0:
	.long	.Ldebug_info_end0-.Ldebug_info_start0 ; Length of Unit
.Ldebug_info_start0:
	.short	4                               ; DWARF version number
	.long	.debug_abbrev                   ; Offset Into Abbrev. Section
	.byte	8                               ; Address Size (in bytes)
	.byte	1                               ; Abbrev [1] 0xb:0x6b DW_TAG_compile_unit
	.long	.Linfo_string0                  ; DW_AT_producer
	.short	2                               ; DW_AT_language
	.long	.Linfo_string1                  ; DW_AT_name
	.long	.Lline_table_start0             ; DW_AT_stmt_list
	.long	.Linfo_string2                  ; DW_AT_comp_dir
	.quad	.Lfunc_begin0                   ; DW_AT_low_pc
	.long	.Lfunc_end0-.Lfunc_begin0       ; DW_AT_high_pc
	.byte	2                               ; Abbrev [2] 0x2a:0x6 DW_TAG_subprogram
	.long	.Linfo_string3                  ; DW_AT_name
	.byte	1                               ; DW_AT_inline
	.byte	3                               ; Abbrev [3] 0x30:0x45 DW_TAG_subprogram
	.quad	.Lfunc_begin0                   ; DW_AT_low_pc
	.long	.Lfunc_end0-.Lfunc_begin0       ; DW_AT_high_pc
	.long	42                              ; DW_AT_abstract_origin
	.byte	4                               ; Abbrev [4] 0x41:0x1a DW_TAG_inlined_subroutine
	.long	42                              ; DW_AT_abstract_origin
	.long	.Ldebug_ranges0                 ; DW_AT_ranges
	.byte	1                               ; DW_AT_call_file
	.byte	42                              ; DW_AT_call_line
	.byte	38                              ; DW_AT_call_column
	.byte	5                               ; Abbrev [5] 0x4d:0xd DW_TAG_inlined_subroutine
	.long	42                              ; DW_AT_abstract_origin
	.long	.Ldebug_ranges1                 ; DW_AT_ranges
	.byte	2                               ; DW_AT_call_file
	.short	293                             ; DW_AT_call_line
	.byte	36                              ; DW_AT_call_column
	.byte	0                               ; End Of Children Mark
	.byte	4                               ; Abbrev [4] 0x5b:0x19 DW_TAG_inlined_subroutine
	.long	42                              ; DW_AT_abstract_origin
	.long	.Ldebug_ranges2                 ; DW_AT_ranges
	.byte	1                               ; DW_AT_call_file
	.byte	39                              ; DW_AT_call_line
	.byte	42                              ; DW_AT_call_column
	.byte	6                               ; Abbrev [6] 0x67:0xc DW_TAG_inlined_subroutine
	.long	42                              ; DW_AT_abstract_origin
	.long	.Ldebug_ranges3                 ; DW_AT_ranges
	.byte	2                               ; DW_AT_call_file
	.byte	191                             ; DW_AT_call_line
	.byte	40                              ; DW_AT_call_column
	.byte	0                               ; End Of Children Mark
	.byte	0                               ; End Of Children Mark
	;; [unrolled: 1-line block ×3, first 2 shown]
.Ldebug_info_end0:
	.section	.debug_ranges,"",@progbits
.Ldebug_ranges0:
	.quad	.Ltmp1-.Lfunc_begin0
	.quad	.Ltmp2-.Lfunc_begin0
	;; [unrolled: 1-line block ×42, first 2 shown]
	.quad	0
	.quad	0
.Ldebug_ranges1:
	.quad	.Ltmp1-.Lfunc_begin0
	.quad	.Ltmp2-.Lfunc_begin0
	;; [unrolled: 1-line block ×42, first 2 shown]
	.quad	0
	.quad	0
.Ldebug_ranges2:
	.quad	.Ltmp3-.Lfunc_begin0
	.quad	.Ltmp4-.Lfunc_begin0
	;; [unrolled: 1-line block ×60, first 2 shown]
	.quad	0
	.quad	0
.Ldebug_ranges3:
	.quad	.Ltmp3-.Lfunc_begin0
	.quad	.Ltmp4-.Lfunc_begin0
	;; [unrolled: 1-line block ×60, first 2 shown]
	.quad	0
	.quad	0
	.section	.debug_str,"MS",@progbits,1
.Linfo_string0:
	.asciz	"triton"                        ; string offset=0
.Linfo_string1:
	.asciz	"attention_fwd.py"              ; string offset=7
.Linfo_string2:
	.asciz	"/root/src/amdgpu-assembly/repos/triton-lang__triton-aot" ; string offset=24
.Linfo_string3:
	.asciz	"attention_fwd_kernel"          ; string offset=80
	.section	".note.GNU-stack","",@progbits
	.amdgpu_metadata
---
amdhsa.kernels:
  - .args:
      - .address_space:  global
        .offset:         0
        .size:           8
        .value_kind:     global_buffer
      - .address_space:  global
        .offset:         8
        .size:           8
        .value_kind:     global_buffer
      - .address_space:  global
        .offset:         16
        .size:           8
        .value_kind:     global_buffer
      - .address_space:  global
        .offset:         24
        .size:           8
        .value_kind:     global_buffer
      - .offset:         32
        .size:           4
        .value_kind:     by_value
      - .offset:         36
        .size:           4
        .value_kind:     by_value
      - .offset:         40
        .size:           4
        .value_kind:     by_value
      - .offset:         44
        .size:           4
        .value_kind:     by_value
      - .offset:         48
        .size:           4
        .value_kind:     by_value
      - .offset:         52
        .size:           4
        .value_kind:     by_value
      - .offset:         56
        .size:           4
        .value_kind:     by_value
      - .offset:         60
        .size:           4
        .value_kind:     by_value
      - .offset:         64
        .size:           4
        .value_kind:     by_value
      - .offset:         68
        .size:           4
        .value_kind:     by_value
      - .address_space:  global
        .offset:         72
        .size:           8
        .value_kind:     global_buffer
      - .address_space:  global
        .offset:         80
        .size:           8
        .value_kind:     global_buffer
    .group_segment_fixed_size: 0
    .kernarg_segment_align: 8
    .kernarg_segment_size: 88
    .max_flat_workgroup_size: 256
    .name:           attention_fwd_kernel
    .private_segment_fixed_size: 0
    .sgpr_count:     107
    .sgpr_spill_count: 38
    .symbol:         attention_fwd_kernel.kd
    .uniform_work_group_size: 1
    .uses_dynamic_stack: false
    .vgpr_count:     252
    .vgpr_spill_count: 0
    .wavefront_size: 32
    .workgroup_processor_mode: 1
amdhsa.target:   amdgcn-amd-amdhsa--gfx1201
amdhsa.version:
  - 1
  - 2
...

	.end_amdgpu_metadata
	.section	.debug_line,"",@progbits
.Lline_table_start0:
